;; amdgpu-corpus repo=zjin-lcf/HeCBench kind=compiled arch=gfx1201 opt=O3
	.amdgcn_target "amdgcn-amd-amdhsa--gfx1201"
	.amdhsa_code_object_version 6
	.section	.text._Z13gqsort_kernelIjEvPT_S1_P12block_recordIS0_EP13parent_recordP11work_recordIS0_E,"axG",@progbits,_Z13gqsort_kernelIjEvPT_S1_P12block_recordIS0_EP13parent_recordP11work_recordIS0_E,comdat
	.protected	_Z13gqsort_kernelIjEvPT_S1_P12block_recordIS0_EP13parent_recordP11work_recordIS0_E ; -- Begin function _Z13gqsort_kernelIjEvPT_S1_P12block_recordIS0_EP13parent_recordP11work_recordIS0_E
	.globl	_Z13gqsort_kernelIjEvPT_S1_P12block_recordIS0_EP13parent_recordP11work_recordIS0_E
	.p2align	8
	.type	_Z13gqsort_kernelIjEvPT_S1_P12block_recordIS0_EP13parent_recordP11work_recordIS0_E,@function
_Z13gqsort_kernelIjEvPT_S1_P12block_recordIS0_EP13parent_recordP11work_recordIS0_E: ; @_Z13gqsort_kernelIjEvPT_S1_P12block_recordIS0_EP13parent_recordP11work_recordIS0_E
; %bb.0:
	s_load_b256 s[8:15], s[0:1], 0x0
	s_mov_b32 s2, ttmp9
	s_mov_b32 s3, 0
	v_dual_mov_b32 v5, 0 :: v_dual_lshlrev_b32 v4, 2, v0
	s_mul_u64 s[4:5], s[2:3], 20
	v_mov_b32_e32 v6, 0
	s_wait_kmcnt 0x0
	s_add_nc_u64 s[4:5], s[12:13], s[4:5]
	s_load_b128 s[16:19], s[4:5], 0x0
	s_load_b64 s[12:13], s[0:1], 0x20
	s_load_b32 s20, s[4:5], 0x10
	ds_store_2addr_b32 v4, v5, v5 offset1:132
	s_wait_dscnt 0x0
	s_barrier_signal -1
	s_barrier_wait -1
	global_inv scope:SCOPE_SE
	s_wait_kmcnt 0x0
	v_add_nc_u32_e32 v1, s16, v0
	s_cmp_eq_u32 s19, 1
	s_cselect_b32 s29, -1, 0
	s_delay_alu instid0(SALU_CYCLE_1) | instskip(NEXT) | instid1(VALU_DEP_1)
	s_and_b32 s0, s29, exec_lo
	v_cmp_gt_u32_e32 vcc_lo, s17, v1
	s_cselect_b32 s16, s9, s11
	s_cselect_b32 s28, s8, s10
	s_and_saveexec_b32 s2, vcc_lo
	s_cbranch_execz .LBB0_4
; %bb.1:
	v_dual_mov_b32 v3, 0 :: v_dual_mov_b32 v6, 0
	s_delay_alu instid0(VALU_DEP_1)
	v_dual_mov_b32 v2, v1 :: v_dual_mov_b32 v5, v3
.LBB0_2:                                ; =>This Inner Loop Header: Depth=1
	s_delay_alu instid0(VALU_DEP_1) | instskip(SKIP_1) | instid1(VALU_DEP_2)
	v_lshlrev_b64_e32 v[7:8], 2, v[2:3]
	v_add_nc_u32_e32 v2, 0x80, v2
	v_add_co_u32 v7, s0, s28, v7
	s_wait_alu 0xf1fe
	s_delay_alu instid0(VALU_DEP_3) | instskip(NEXT) | instid1(VALU_DEP_3)
	v_add_co_ci_u32_e64 v8, null, s16, v8, s0
	v_cmp_le_u32_e64 s0, s17, v2
	global_load_b32 v7, v[7:8], off
	s_or_b32 s3, s0, s3
	s_wait_loadcnt 0x0
	v_cmp_gt_u32_e64 s1, s18, v7
	s_wait_alu 0xf1ff
	s_delay_alu instid0(VALU_DEP_1) | instskip(SKIP_2) | instid1(VALU_DEP_1)
	v_add_co_ci_u32_e64 v5, null, 0, v5, s1
	v_cmp_lt_u32_e64 s1, s18, v7
	s_wait_alu 0xf1ff
	v_add_co_ci_u32_e64 v6, null, 0, v6, s1
	s_and_not1_b32 exec_lo, exec_lo, s3
	s_cbranch_execnz .LBB0_2
; %bb.3:
	s_or_b32 exec_lo, exec_lo, s3
.LBB0_4:
	s_delay_alu instid0(SALU_CYCLE_1)
	s_or_b32 exec_lo, exec_lo, s2
	v_add_nc_u32_e32 v3, 0x210, v4
	v_and_b32_e32 v7, 1, v0
	ds_store_b32 v3, v5
	ds_store_b32 v4, v6
	v_add_nc_u32_e32 v2, -4, v3
	v_cmp_eq_u32_e64 s0, 1, v7
	v_add_nc_u32_e32 v5, -4, v4
	s_wait_loadcnt_dscnt 0x0
	s_barrier_signal -1
	s_barrier_wait -1
	global_inv scope:SCOPE_SE
	s_and_saveexec_b32 s1, s0
	s_cbranch_execz .LBB0_6
; %bb.5:
	ds_load_2addr_b32 v[6:7], v2 offset1:1
	ds_load_2addr_b32 v[8:9], v5 offset1:1
	s_wait_dscnt 0x1
	v_add_nc_u32_e32 v6, v7, v6
	s_wait_dscnt 0x0
	v_add_nc_u32_e32 v7, v9, v8
	ds_store_b32 v3, v6
	ds_store_b32 v4, v7
.LBB0_6:
	s_wait_alu 0xfffe
	s_or_b32 exec_lo, exec_lo, s1
	v_and_b32_e32 v7, 3, v0
	v_add_nc_u32_e32 v6, -8, v3
	s_wait_loadcnt_dscnt 0x0
	s_barrier_signal -1
	s_barrier_wait -1
	v_cmp_eq_u32_e64 s1, 3, v7
	v_add_nc_u32_e32 v7, -8, v4
	global_inv scope:SCOPE_SE
	s_and_saveexec_b32 s2, s1
	s_cbranch_execz .LBB0_8
; %bb.7:
	ds_load_b32 v8, v6
	ds_load_b32 v9, v7
	;; [unrolled: 1-line block ×4, first 2 shown]
	s_wait_dscnt 0x1
	v_add_nc_u32_e32 v8, v10, v8
	s_wait_dscnt 0x0
	v_add_nc_u32_e32 v9, v11, v9
	ds_store_b32 v3, v8
	ds_store_b32 v4, v9
.LBB0_8:
	s_or_b32 exec_lo, exec_lo, s2
	v_and_b32_e32 v9, 7, v0
	v_add_nc_u32_e32 v8, -16, v3
	s_wait_loadcnt_dscnt 0x0
	s_barrier_signal -1
	s_barrier_wait -1
	v_cmp_eq_u32_e64 s2, 7, v9
	v_add_nc_u32_e32 v9, -16, v4
	global_inv scope:SCOPE_SE
	s_and_saveexec_b32 s3, s2
	s_cbranch_execz .LBB0_10
; %bb.9:
	ds_load_b32 v10, v8
	ds_load_b32 v11, v9
	ds_load_b32 v12, v3
	ds_load_b32 v13, v4
	s_wait_dscnt 0x1
	v_add_nc_u32_e32 v10, v12, v10
	s_wait_dscnt 0x0
	v_add_nc_u32_e32 v11, v13, v11
	ds_store_b32 v3, v10
	ds_store_b32 v4, v11
.LBB0_10:
	s_or_b32 exec_lo, exec_lo, s3
	v_and_b32_e32 v11, 15, v0
	v_subrev_nc_u32_e32 v10, 32, v3
	s_wait_loadcnt_dscnt 0x0
	s_barrier_signal -1
	s_barrier_wait -1
	v_cmp_eq_u32_e64 s3, 15, v11
	v_subrev_nc_u32_e32 v11, 32, v4
	global_inv scope:SCOPE_SE
	s_and_saveexec_b32 s4, s3
	s_cbranch_execz .LBB0_12
; %bb.11:
	ds_load_b32 v12, v10
	ds_load_b32 v13, v11
	;; [unrolled: 1-line block ×4, first 2 shown]
	s_wait_dscnt 0x1
	v_add_nc_u32_e32 v12, v14, v12
	s_wait_dscnt 0x0
	v_add_nc_u32_e32 v13, v15, v13
	ds_store_b32 v3, v12
	ds_store_b32 v4, v13
.LBB0_12:
	s_or_b32 exec_lo, exec_lo, s4
	v_and_b32_e32 v13, 31, v0
	v_subrev_nc_u32_e32 v12, 64, v3
	s_wait_loadcnt_dscnt 0x0
	s_barrier_signal -1
	s_barrier_wait -1
	v_cmp_eq_u32_e64 s4, 31, v13
	v_subrev_nc_u32_e32 v13, 64, v4
	global_inv scope:SCOPE_SE
	s_and_saveexec_b32 s5, s4
	s_cbranch_execz .LBB0_14
; %bb.13:
	ds_load_b32 v14, v12
	ds_load_b32 v15, v13
	;; [unrolled: 1-line block ×4, first 2 shown]
	s_wait_dscnt 0x1
	v_add_nc_u32_e32 v14, v16, v14
	s_wait_dscnt 0x0
	v_add_nc_u32_e32 v15, v17, v15
	ds_store_b32 v3, v14
	ds_store_b32 v4, v15
.LBB0_14:
	s_or_b32 exec_lo, exec_lo, s5
	v_and_b32_e32 v15, 63, v0
	v_add_nc_u32_e32 v14, 0xffffff80, v3
	s_wait_loadcnt_dscnt 0x0
	s_barrier_signal -1
	s_barrier_wait -1
	v_cmp_eq_u32_e64 s5, 63, v15
	v_add_nc_u32_e32 v15, 0xffffff80, v4
	global_inv scope:SCOPE_SE
	s_and_saveexec_b32 s6, s5
	s_cbranch_execz .LBB0_16
; %bb.15:
	ds_load_b32 v16, v14
	ds_load_b32 v17, v15
	;; [unrolled: 1-line block ×4, first 2 shown]
	s_wait_dscnt 0x1
	v_add_nc_u32_e32 v16, v18, v16
	s_wait_dscnt 0x0
	v_add_nc_u32_e32 v17, v19, v17
	ds_store_b32 v3, v16
	ds_store_b32 v4, v17
.LBB0_16:
	s_or_b32 exec_lo, exec_lo, s6
	v_and_b32_e32 v17, 0x7f, v0
	v_add_nc_u32_e32 v16, 0xffffff00, v3
	s_wait_loadcnt_dscnt 0x0
	s_barrier_signal -1
	s_barrier_wait -1
	v_cmp_eq_u32_e64 s6, 0x7f, v17
	v_add_nc_u32_e32 v17, 0xffffff00, v4
	global_inv scope:SCOPE_SE
	s_and_saveexec_b32 s7, s6
	s_cbranch_execz .LBB0_18
; %bb.17:
	ds_load_b32 v18, v16
	ds_load_b32 v19, v17
	;; [unrolled: 1-line block ×4, first 2 shown]
	s_wait_dscnt 0x1
	v_add_nc_u32_e32 v18, v20, v18
	s_wait_dscnt 0x0
	v_add_nc_u32_e32 v19, v21, v19
	ds_store_b32 v3, v18
	ds_store_b32 v4, v19
.LBB0_18:
	s_or_b32 exec_lo, exec_lo, s7
	s_wait_loadcnt_dscnt 0x0
	s_barrier_signal -1
	s_barrier_wait -1
	global_inv scope:SCOPE_SE
	s_and_saveexec_b32 s7, s6
	s_cbranch_execz .LBB0_20
; %bb.19:
	ds_load_b32 v18, v3
	ds_load_b32 v20, v4
	v_mov_b32_e32 v21, 0
	s_wait_dscnt 0x1
	v_mov_b32_e32 v19, v18
	s_wait_dscnt 0x0
	ds_store_2addr_b32 v21, v20, v20 offset0:128 offset1:131
	ds_store_b64 v21, v[18:19] offset:1040
	ds_store_b32 v3, v21
	ds_store_b32 v4, v21
.LBB0_20:
	s_or_b32 exec_lo, exec_lo, s7
	s_and_saveexec_b32 s7, s6
	s_cbranch_execz .LBB0_22
; %bb.21:
	ds_load_b32 v18, v16
	ds_load_b32 v19, v17
	ds_load_b32 v20, v3
	ds_load_b32 v21, v4
	s_wait_dscnt 0x1
	v_add_nc_u32_e32 v18, v20, v18
	s_wait_dscnt 0x0
	v_add_nc_u32_e32 v19, v21, v19
	ds_store_b32 v16, v20
	ds_store_b32 v17, v21
	ds_store_b32 v3, v18
	ds_store_b32 v4, v19
.LBB0_22:
	s_or_b32 exec_lo, exec_lo, s7
	s_wait_loadcnt_dscnt 0x0
	s_barrier_signal -1
	s_barrier_wait -1
	global_inv scope:SCOPE_SE
	s_and_saveexec_b32 s6, s5
	s_cbranch_execz .LBB0_24
; %bb.23:
	ds_load_b32 v16, v14
	ds_load_b32 v17, v15
	ds_load_b32 v18, v3
	ds_load_b32 v19, v4
	s_wait_dscnt 0x1
	v_add_nc_u32_e32 v16, v18, v16
	s_wait_dscnt 0x0
	v_add_nc_u32_e32 v17, v19, v17
	ds_store_b32 v14, v18
	ds_store_b32 v15, v19
	ds_store_b32 v3, v16
	ds_store_b32 v4, v17
.LBB0_24:
	s_or_b32 exec_lo, exec_lo, s6
	s_wait_loadcnt_dscnt 0x0
	s_barrier_signal -1
	s_barrier_wait -1
	global_inv scope:SCOPE_SE
	s_and_saveexec_b32 s5, s4
	s_cbranch_execz .LBB0_26
; %bb.25:
	ds_load_b32 v14, v12
	ds_load_b32 v15, v13
	ds_load_b32 v16, v3
	ds_load_b32 v17, v4
	s_wait_dscnt 0x1
	v_add_nc_u32_e32 v14, v16, v14
	s_wait_dscnt 0x0
	v_add_nc_u32_e32 v15, v17, v15
	ds_store_b32 v12, v16
	ds_store_b32 v13, v17
	ds_store_b32 v3, v14
	ds_store_b32 v4, v15
.LBB0_26:
	s_or_b32 exec_lo, exec_lo, s5
	s_wait_loadcnt_dscnt 0x0
	s_barrier_signal -1
	s_barrier_wait -1
	global_inv scope:SCOPE_SE
	s_and_saveexec_b32 s4, s3
	s_cbranch_execz .LBB0_28
; %bb.27:
	ds_load_b32 v12, v10
	ds_load_b32 v13, v11
	ds_load_b32 v14, v3
	ds_load_b32 v15, v4
	s_wait_dscnt 0x1
	v_add_nc_u32_e32 v12, v14, v12
	s_wait_dscnt 0x0
	v_add_nc_u32_e32 v13, v15, v13
	ds_store_b32 v10, v14
	ds_store_b32 v11, v15
	ds_store_b32 v3, v12
	ds_store_b32 v4, v13
.LBB0_28:
	s_or_b32 exec_lo, exec_lo, s4
	s_wait_loadcnt_dscnt 0x0
	s_barrier_signal -1
	s_barrier_wait -1
	global_inv scope:SCOPE_SE
	s_and_saveexec_b32 s3, s2
	s_cbranch_execz .LBB0_30
; %bb.29:
	ds_load_b32 v10, v8
	ds_load_b32 v11, v9
	ds_load_b32 v12, v3
	ds_load_b32 v13, v4
	s_wait_dscnt 0x1
	v_add_nc_u32_e32 v10, v12, v10
	s_wait_dscnt 0x0
	v_add_nc_u32_e32 v11, v13, v11
	ds_store_b32 v8, v12
	ds_store_b32 v9, v13
	ds_store_b32 v3, v10
	ds_store_b32 v4, v11
.LBB0_30:
	s_or_b32 exec_lo, exec_lo, s3
	s_wait_loadcnt_dscnt 0x0
	s_barrier_signal -1
	s_barrier_wait -1
	global_inv scope:SCOPE_SE
	s_and_saveexec_b32 s2, s1
	s_cbranch_execz .LBB0_32
; %bb.31:
	ds_load_b32 v8, v6
	ds_load_b32 v9, v7
	ds_load_b32 v10, v3
	ds_load_b32 v11, v4
	s_wait_dscnt 0x1
	v_add_nc_u32_e32 v8, v10, v8
	s_wait_dscnt 0x0
	v_add_nc_u32_e32 v9, v11, v9
	ds_store_b32 v6, v10
	ds_store_b32 v7, v11
	ds_store_b32 v3, v8
	ds_store_b32 v4, v9
.LBB0_32:
	s_or_b32 exec_lo, exec_lo, s2
	s_wait_loadcnt_dscnt 0x0
	s_barrier_signal -1
	s_barrier_wait -1
	global_inv scope:SCOPE_SE
	s_and_saveexec_b32 s1, s0
	s_cbranch_execz .LBB0_34
; %bb.33:
	ds_load_2addr_b32 v[6:7], v2 offset1:1
	ds_load_2addr_b32 v[8:9], v5 offset1:1
	s_wait_dscnt 0x1
	v_add_nc_u32_e32 v6, v7, v6
	s_wait_dscnt 0x0
	v_add_nc_u32_e32 v8, v9, v8
	ds_store_2addr_b32 v2, v7, v6 offset1:1
	ds_store_2addr_b32 v5, v9, v8 offset1:1
.LBB0_34:
	s_wait_alu 0xfffe
	s_or_b32 exec_lo, exec_lo, s1
	v_cmp_eq_u32_e64 s0, 0, v0
	s_mov_b32 s21, 0
	s_wait_loadcnt_dscnt 0x0
	s_barrier_signal -1
	s_barrier_wait -1
	global_inv scope:SCOPE_SE
                                        ; implicit-def: $sgpr26_sgpr27
                                        ; implicit-def: $sgpr22_sgpr23
                                        ; implicit-def: $sgpr24_sgpr25
                                        ; implicit-def: $sgpr6_sgpr7
                                        ; implicit-def: $sgpr4_sgpr5
	s_and_saveexec_b32 s2, s0
	s_cbranch_execz .LBB0_40
; %bb.35:
	v_mov_b32_e32 v0, 0
	s_mov_b32 s3, exec_lo
	s_mul_u64 s[4:5], s[20:21], 20
	v_mbcnt_lo_u32_b32 v6, s3, 0
	s_add_nc_u64 s[4:5], s[14:15], s[4:5]
	ds_load_b32 v2, v0 offset:1044
	s_mov_b32 s6, exec_lo
                                        ; implicit-def: $vgpr7
	v_cmpx_eq_u32_e32 0, v6
	s_cbranch_execz .LBB0_37
; %bb.36:
	s_bcnt1_i32_b32 s1, s3
	s_wait_dscnt 0x0
	s_wait_alu 0xfffe
	v_mul_lo_u32 v5, v2, s1
	global_atomic_add_u32 v7, v0, v5, s[4:5] th:TH_ATOMIC_RETURN scope:SCOPE_DEV
.LBB0_37:
	s_or_b32 exec_lo, exec_lo, s6
	ds_load_b32 v5, v0 offset:524
	s_wait_loadcnt 0x0
	v_readfirstlane_b32 s6, v7
	s_mov_b32 s3, exec_lo
	s_mov_b32 s14, exec_lo
	s_wait_alu 0xfffe
	v_mbcnt_lo_u32_b32 v7, s3, 0
	s_wait_dscnt 0x1
	v_mad_co_u64_u32 v[8:9], null, v2, v6, s[6:7]
	s_add_nc_u64 s[6:7], s[4:5], 4
	ds_store_b32 v0, v8 offset:520
                                        ; implicit-def: $vgpr0
	s_wait_dscnt 0x1
	v_sub_nc_u32_e32 v2, 0, v5
	v_cmpx_eq_u32_e32 0, v7
	s_cbranch_execz .LBB0_39
; %bb.38:
	s_bcnt1_i32_b32 s1, s3
	v_mov_b32_e32 v6, 0
	s_wait_alu 0xfffe
	v_mul_lo_u32 v0, v2, s1
	global_atomic_add_u32 v0, v6, v0, s[6:7] th:TH_ATOMIC_RETURN scope:SCOPE_DEV
.LBB0_39:
	s_or_b32 exec_lo, exec_lo, s14
	s_wait_loadcnt 0x0
	v_readfirstlane_b32 s14, v0
	s_add_nc_u64 s[24:25], s[4:5], 8
	s_add_nc_u64 s[22:23], s[4:5], 12
	;; [unrolled: 1-line block ×3, first 2 shown]
	v_mad_co_u64_u32 v[6:7], null, v2, v7, s[14:15]
	v_mov_b32_e32 v2, 0
	s_delay_alu instid0(VALU_DEP_2)
	v_sub_nc_u32_e32 v0, v6, v5
	ds_store_b32 v2, v0 offset:516
.LBB0_40:
	s_or_b32 exec_lo, exec_lo, s2
	s_delay_alu instid0(SALU_CYCLE_1)
	s_and_b32 s1, s29, exec_lo
	s_cselect_b32 s3, s11, s9
	s_cselect_b32 s2, s10, s8
	s_wait_loadcnt_dscnt 0x0
	s_barrier_signal -1
	s_barrier_wait -1
	global_inv scope:SCOPE_SE
	s_and_saveexec_b32 s1, vcc_lo
	s_cbranch_execz .LBB0_47
; %bb.41:
	v_mov_b32_e32 v2, 0
	s_mov_b32 s10, 0
	ds_load_b32 v0, v4
	ds_load_2addr_b32 v[4:5], v2 offset0:129 offset1:130
	ds_load_b32 v6, v3
	s_wait_dscnt 0x1
	v_add_nc_u32_e32 v3, v0, v4
	s_wait_dscnt 0x0
	v_add_nc_u32_e32 v5, v6, v5
	s_branch .LBB0_43
.LBB0_42:                               ;   in Loop: Header=BB0_43 Depth=1
	s_or_b32 exec_lo, exec_lo, s11
	v_add_nc_u32_e32 v1, 0x80, v1
	s_delay_alu instid0(VALU_DEP_1) | instskip(SKIP_1) | instid1(SALU_CYCLE_1)
	v_cmp_le_u32_e32 vcc_lo, s17, v1
	s_or_b32 s10, vcc_lo, s10
	s_and_not1_b32 exec_lo, exec_lo, s10
	s_cbranch_execz .LBB0_47
.LBB0_43:                               ; =>This Inner Loop Header: Depth=1
	v_lshlrev_b64_e32 v[6:7], 2, v[1:2]
	s_mov_b32 s11, exec_lo
	s_delay_alu instid0(VALU_DEP_1) | instskip(SKIP_1) | instid1(VALU_DEP_2)
	v_add_co_u32 v6, vcc_lo, s28, v6
	s_wait_alu 0xfffd
	v_add_co_ci_u32_e64 v7, null, s16, v7, vcc_lo
	global_load_b32 v0, v[6:7], off
	s_wait_loadcnt 0x0
	v_cmpx_gt_u32_e64 s18, v0
	s_cbranch_execz .LBB0_45
; %bb.44:                               ;   in Loop: Header=BB0_43 Depth=1
	v_mov_b32_e32 v6, v2
	s_delay_alu instid0(VALU_DEP_1) | instskip(SKIP_2) | instid1(VALU_DEP_2)
	v_lshlrev_b64_e32 v[6:7], 2, v[5:6]
	v_add_nc_u32_e32 v5, 1, v5
	s_wait_alu 0xfffe
	v_add_co_u32 v6, vcc_lo, s2, v6
	s_wait_alu 0xfffd
	s_delay_alu instid0(VALU_DEP_3)
	v_add_co_ci_u32_e64 v7, null, s3, v7, vcc_lo
	global_store_b32 v[6:7], v0, off
.LBB0_45:                               ;   in Loop: Header=BB0_43 Depth=1
	s_or_b32 exec_lo, exec_lo, s11
	s_delay_alu instid0(SALU_CYCLE_1)
	s_mov_b32 s11, exec_lo
	v_cmpx_lt_u32_e64 s18, v0
	s_cbranch_execz .LBB0_42
; %bb.46:                               ;   in Loop: Header=BB0_43 Depth=1
	v_mov_b32_e32 v4, v2
	s_delay_alu instid0(VALU_DEP_1) | instskip(SKIP_2) | instid1(VALU_DEP_2)
	v_lshlrev_b64_e32 v[6:7], 2, v[3:4]
	v_add_nc_u32_e32 v3, 1, v3
	s_wait_alu 0xfffe
	v_add_co_u32 v6, vcc_lo, s2, v6
	s_wait_alu 0xfffd
	s_delay_alu instid0(VALU_DEP_3)
	v_add_co_ci_u32_e64 v7, null, s3, v7, vcc_lo
	global_store_b32 v[6:7], v0, off
	s_branch .LBB0_42
.LBB0_47:
	s_wait_alu 0xfffe
	s_or_b32 exec_lo, exec_lo, s1
	s_wait_loadcnt 0x0
	s_wait_storecnt 0x0
	s_barrier_signal -1
	s_barrier_wait -1
	global_inv scope:SCOPE_SE
	s_and_saveexec_b32 s1, s0
	s_cbranch_execz .LBB0_59
; %bb.48:
	s_mov_b32 s1, exec_lo
	s_mov_b32 s0, exec_lo
	s_wait_alu 0xfffe
	v_mbcnt_lo_u32_b32 v0, s1, 0
                                        ; implicit-def: $vgpr1
	s_delay_alu instid0(VALU_DEP_1)
	v_cmpx_eq_u32_e32 0, v0
	s_cbranch_execz .LBB0_50
; %bb.49:
	s_bcnt1_i32_b32 s1, s1
	s_wait_alu 0xfffe
	s_sub_co_i32 s1, 0, s1
	s_wait_alu 0xfffe
	v_dual_mov_b32 v1, 0 :: v_dual_mov_b32 v2, s1
	global_atomic_add_u32 v1, v1, v2, s[26:27] th:TH_ATOMIC_RETURN scope:SCOPE_DEV
.LBB0_50:
	s_or_b32 exec_lo, exec_lo, s0
	s_wait_loadcnt 0x0
	v_readfirstlane_b32 s0, v1
	s_wait_alu 0xf1ff
	s_delay_alu instid0(VALU_DEP_1) | instskip(NEXT) | instid1(VALU_DEP_1)
	v_sub_nc_u32_e32 v0, s0, v0
	v_cmp_eq_u32_e32 vcc_lo, 0, v0
	s_and_b32 exec_lo, exec_lo, vcc_lo
	s_cbranch_execz .LBB0_59
; %bb.51:
	v_mov_b32_e32 v0, 0
	s_clause 0x3
	global_load_b32 v1, v0, s[4:5]
	global_load_b32 v2, v0, s[6:7]
	;; [unrolled: 1-line block ×4, first 2 shown]
	s_wait_loadcnt 0x3
	v_readfirstlane_b32 s4, v1
	s_wait_loadcnt 0x2
	v_cmp_ge_u32_e32 vcc_lo, v1, v2
	v_readfirstlane_b32 s0, v2
	s_wait_loadcnt 0x1
	v_readfirstlane_b32 s6, v3
	s_wait_loadcnt 0x0
	v_readfirstlane_b32 s10, v4
	s_cbranch_vccnz .LBB0_54
; %bb.52:
	s_mov_b32 s5, 0
	v_mov_b32_e32 v1, s18
	s_lshl_b64 s[14:15], s[4:5], 2
	s_mov_b32 s1, s4
	s_wait_alu 0xfffe
	s_add_nc_u64 s[8:9], s[8:9], s[14:15]
.LBB0_53:                               ; =>This Inner Loop Header: Depth=1
	s_add_co_i32 s1, s1, 1
	global_store_b32 v0, v1, s[8:9]
	s_wait_alu 0xfffe
	s_cmp_lt_u32 s1, s0
	s_add_nc_u64 s[8:9], s[8:9], 4
	s_cbranch_scc1 .LBB0_53
.LBB0_54:
	s_mov_b32 s7, 0
	s_add_co_i32 s8, s10, -1
	s_wait_alu 0xfffe
	s_mov_b32 s9, s7
	s_lshl_b64 s[14:15], s[6:7], 2
	s_lshl_b64 s[8:9], s[8:9], 2
	s_wait_alu 0xfffe
	s_add_nc_u64 s[14:15], s[2:3], s[14:15]
	s_add_nc_u64 s[8:9], s[2:3], s[8:9]
	s_clause 0x1
	global_load_b32 v6, v0, s[14:15]
	global_load_b32 v2, v0, s[8:9]
	s_cmp_ge_u32 s6, s4
	s_cbranch_scc1 .LBB0_56
; %bb.55:
	s_add_co_i32 s1, s6, s4
	s_mov_b32 s9, s7
	s_wait_alu 0xfffe
	s_lshr_b32 s8, s1, 1
	v_mov_b32_e32 v0, 0
	s_lshl_b64 s[8:9], s[8:9], 2
	s_add_co_i32 s14, s4, -1
	s_add_nc_u64 s[8:9], s[2:3], s[8:9]
	s_mov_b32 s15, s7
	global_load_b32 v1, v0, s[8:9]
	s_wait_alu 0xfffe
	s_lshl_b64 s[8:9], s[14:15], 2
	s_delay_alu instid0(SALU_CYCLE_1)
	s_add_nc_u64 s[8:9], s[2:3], s[8:9]
	global_load_b32 v0, v0, s[8:9]
	s_wait_loadcnt 0x1
	v_min_u32_e32 v3, v6, v1
	v_max_u32_e32 v1, v6, v1
	s_wait_loadcnt 0x0
	s_delay_alu instid0(VALU_DEP_2) | instskip(NEXT) | instid1(VALU_DEP_2)
	v_max_u32_e32 v3, v3, v0
	v_cmp_lt_u32_e32 vcc_lo, v1, v0
	s_wait_alu 0xfffd
	s_delay_alu instid0(VALU_DEP_2)
	v_cndmask_b32_e32 v6, v3, v1, vcc_lo
.LBB0_56:
	s_cmp_ge_u32 s0, s10
	s_cbranch_scc1 .LBB0_58
; %bb.57:
	s_mov_b32 s1, 0
	s_add_co_i32 s5, s10, s0
	v_mov_b32_e32 v0, 0
	s_lshr_b32 s8, s5, 1
	s_wait_alu 0xfffe
	s_mov_b32 s9, s1
	s_lshl_b64 s[14:15], s[0:1], 2
	s_lshl_b64 s[8:9], s[8:9], 2
	s_wait_alu 0xfffe
	s_add_nc_u64 s[14:15], s[2:3], s[14:15]
	s_add_nc_u64 s[2:3], s[2:3], s[8:9]
	s_clause 0x1
	global_load_b32 v1, v0, s[14:15]
	global_load_b32 v0, v0, s[2:3]
	s_wait_loadcnt 0x0
	v_min_u32_e32 v3, v1, v0
	v_max_u32_e32 v0, v1, v0
	s_delay_alu instid0(VALU_DEP_2) | instskip(NEXT) | instid1(VALU_DEP_2)
	v_max_u32_e32 v1, v3, v2
	v_cmp_lt_u32_e32 vcc_lo, v0, v2
	s_wait_alu 0xfffd
	s_delay_alu instid0(VALU_DEP_2)
	v_cndmask_b32_e32 v2, v1, v0, vcc_lo
.LBB0_58:
	s_xor_b32 s1, s19, 1
	s_lshl_b32 s2, ttmp9, 1
	s_mov_b32 s3, 0
	s_wait_alu 0xfffe
	v_dual_mov_b32 v8, 0 :: v_dual_mov_b32 v7, s1
	v_dual_mov_b32 v4, s6 :: v_dual_mov_b32 v5, s4
	s_lshl_b64 s[2:3], s[2:3], 4
	v_dual_mov_b32 v0, s0 :: v_dual_mov_b32 v1, s10
	v_mov_b32_e32 v3, s1
	s_wait_alu 0xfffe
	s_add_nc_u64 s[0:1], s[12:13], s[2:3]
	s_wait_loadcnt 0x1
	global_store_b128 v8, v[4:7], s[0:1]
	s_wait_loadcnt 0x0
	global_store_b128 v8, v[0:3], s[0:1] offset:16
.LBB0_59:
	s_endpgm
	.section	.rodata,"a",@progbits
	.p2align	6, 0x0
	.amdhsa_kernel _Z13gqsort_kernelIjEvPT_S1_P12block_recordIS0_EP13parent_recordP11work_recordIS0_E
		.amdhsa_group_segment_fixed_size 1048
		.amdhsa_private_segment_fixed_size 0
		.amdhsa_kernarg_size 40
		.amdhsa_user_sgpr_count 2
		.amdhsa_user_sgpr_dispatch_ptr 0
		.amdhsa_user_sgpr_queue_ptr 0
		.amdhsa_user_sgpr_kernarg_segment_ptr 1
		.amdhsa_user_sgpr_dispatch_id 0
		.amdhsa_user_sgpr_private_segment_size 0
		.amdhsa_wavefront_size32 1
		.amdhsa_uses_dynamic_stack 0
		.amdhsa_enable_private_segment 0
		.amdhsa_system_sgpr_workgroup_id_x 1
		.amdhsa_system_sgpr_workgroup_id_y 0
		.amdhsa_system_sgpr_workgroup_id_z 0
		.amdhsa_system_sgpr_workgroup_info 0
		.amdhsa_system_vgpr_workitem_id 0
		.amdhsa_next_free_vgpr 22
		.amdhsa_next_free_sgpr 30
		.amdhsa_reserve_vcc 1
		.amdhsa_float_round_mode_32 0
		.amdhsa_float_round_mode_16_64 0
		.amdhsa_float_denorm_mode_32 3
		.amdhsa_float_denorm_mode_16_64 3
		.amdhsa_fp16_overflow 0
		.amdhsa_workgroup_processor_mode 1
		.amdhsa_memory_ordered 1
		.amdhsa_forward_progress 1
		.amdhsa_inst_pref_size 27
		.amdhsa_round_robin_scheduling 0
		.amdhsa_exception_fp_ieee_invalid_op 0
		.amdhsa_exception_fp_denorm_src 0
		.amdhsa_exception_fp_ieee_div_zero 0
		.amdhsa_exception_fp_ieee_overflow 0
		.amdhsa_exception_fp_ieee_underflow 0
		.amdhsa_exception_fp_ieee_inexact 0
		.amdhsa_exception_int_div_zero 0
	.end_amdhsa_kernel
	.section	.text._Z13gqsort_kernelIjEvPT_S1_P12block_recordIS0_EP13parent_recordP11work_recordIS0_E,"axG",@progbits,_Z13gqsort_kernelIjEvPT_S1_P12block_recordIS0_EP13parent_recordP11work_recordIS0_E,comdat
.Lfunc_end0:
	.size	_Z13gqsort_kernelIjEvPT_S1_P12block_recordIS0_EP13parent_recordP11work_recordIS0_E, .Lfunc_end0-_Z13gqsort_kernelIjEvPT_S1_P12block_recordIS0_EP13parent_recordP11work_recordIS0_E
                                        ; -- End function
	.set _Z13gqsort_kernelIjEvPT_S1_P12block_recordIS0_EP13parent_recordP11work_recordIS0_E.num_vgpr, 22
	.set _Z13gqsort_kernelIjEvPT_S1_P12block_recordIS0_EP13parent_recordP11work_recordIS0_E.num_agpr, 0
	.set _Z13gqsort_kernelIjEvPT_S1_P12block_recordIS0_EP13parent_recordP11work_recordIS0_E.numbered_sgpr, 30
	.set _Z13gqsort_kernelIjEvPT_S1_P12block_recordIS0_EP13parent_recordP11work_recordIS0_E.num_named_barrier, 0
	.set _Z13gqsort_kernelIjEvPT_S1_P12block_recordIS0_EP13parent_recordP11work_recordIS0_E.private_seg_size, 0
	.set _Z13gqsort_kernelIjEvPT_S1_P12block_recordIS0_EP13parent_recordP11work_recordIS0_E.uses_vcc, 1
	.set _Z13gqsort_kernelIjEvPT_S1_P12block_recordIS0_EP13parent_recordP11work_recordIS0_E.uses_flat_scratch, 0
	.set _Z13gqsort_kernelIjEvPT_S1_P12block_recordIS0_EP13parent_recordP11work_recordIS0_E.has_dyn_sized_stack, 0
	.set _Z13gqsort_kernelIjEvPT_S1_P12block_recordIS0_EP13parent_recordP11work_recordIS0_E.has_recursion, 0
	.set _Z13gqsort_kernelIjEvPT_S1_P12block_recordIS0_EP13parent_recordP11work_recordIS0_E.has_indirect_call, 0
	.section	.AMDGPU.csdata,"",@progbits
; Kernel info:
; codeLenInByte = 3344
; TotalNumSgprs: 32
; NumVgprs: 22
; ScratchSize: 0
; MemoryBound: 0
; FloatMode: 240
; IeeeMode: 1
; LDSByteSize: 1048 bytes/workgroup (compile time only)
; SGPRBlocks: 0
; VGPRBlocks: 2
; NumSGPRsForWavesPerEU: 32
; NumVGPRsForWavesPerEU: 22
; Occupancy: 16
; WaveLimiterHint : 1
; COMPUTE_PGM_RSRC2:SCRATCH_EN: 0
; COMPUTE_PGM_RSRC2:USER_SGPR: 2
; COMPUTE_PGM_RSRC2:TRAP_HANDLER: 0
; COMPUTE_PGM_RSRC2:TGID_X_EN: 1
; COMPUTE_PGM_RSRC2:TGID_Y_EN: 0
; COMPUTE_PGM_RSRC2:TGID_Z_EN: 0
; COMPUTE_PGM_RSRC2:TIDIG_COMP_CNT: 0
	.text
	.p2align	2                               ; -- Begin function _Z14sort_thresholdIjEvPT_S1_jjS1_j
	.type	_Z14sort_thresholdIjEvPT_S1_jjS1_j,@function
_Z14sort_thresholdIjEvPT_S1_jjS1_j:     ; @_Z14sort_thresholdIjEvPT_S1_jjS1_j
; %bb.0:
	s_wait_loadcnt_dscnt 0x0
	s_wait_expcnt 0x0
	s_wait_samplecnt 0x0
	s_wait_bvhcnt 0x0
	s_wait_kmcnt 0x0
	v_sub_nc_u32_e32 v5, v5, v4
	s_mov_b32 s0, exec_lo
	s_delay_alu instid0(VALU_DEP_1)
	v_cmpx_ne_u32_e32 0x100, v5
	s_wait_alu 0xfffe
	s_xor_b32 s1, exec_lo, s0
	s_cbranch_execnz .LBB1_3
; %bb.1:
	s_wait_alu 0xfffe
	s_and_not1_saveexec_b32 s1, s1
	s_cbranch_execnz .LBB1_18
.LBB1_2:
	s_wait_alu 0xfffe
	s_or_b32 exec_lo, exec_lo, s1
	s_wait_loadcnt_dscnt 0x0
	s_setpc_b64 s[30:31]
.LBB1_3:
	s_mov_b32 s0, exec_lo
	v_cmpx_gt_u32_e32 2, v5
	s_wait_alu 0xfffe
	s_xor_b32 s2, exec_lo, s0
	s_cbranch_execz .LBB1_7
; %bb.4:
	v_cmp_eq_u32_e32 vcc_lo, 1, v5
	v_cmp_eq_u32_e64 s0, 0, v6
	s_and_b32 s3, vcc_lo, s0
	s_wait_alu 0xfffe
	s_and_saveexec_b32 s0, s3
	s_cbranch_execz .LBB1_6
; %bb.5:
	v_mov_b32_e32 v5, 0
	s_delay_alu instid0(VALU_DEP_1) | instskip(NEXT) | instid1(VALU_DEP_1)
	v_lshlrev_b64_e32 v[4:5], 2, v[4:5]
	v_add_co_u32 v0, vcc_lo, v0, v4
	s_wait_alu 0xfffd
	s_delay_alu instid0(VALU_DEP_2)
	v_add_co_ci_u32_e64 v1, null, v1, v5, vcc_lo
	flat_load_b32 v6, v[0:1]
	v_add_co_u32 v0, vcc_lo, v2, v4
	s_wait_alu 0xfffd
	v_add_co_ci_u32_e64 v1, null, v3, v5, vcc_lo
	s_wait_loadcnt_dscnt 0x0
	flat_store_b32 v[0:1], v6
.LBB1_6:
	s_wait_alu 0xfffe
	s_or_b32 exec_lo, exec_lo, s0
                                        ; implicit-def: $vgpr6
                                        ; implicit-def: $vgpr5
                                        ; implicit-def: $vgpr4
                                        ; implicit-def: $vgpr2
                                        ; implicit-def: $vgpr3
                                        ; implicit-def: $vgpr0
                                        ; implicit-def: $vgpr1
.LBB1_7:
	s_wait_alu 0xfffe
	s_and_not1_saveexec_b32 s2, s2
	s_cbranch_execz .LBB1_17
; %bb.8:
	v_lshl_add_u32 v9, v6, 2, 0x3600
	s_mov_b32 s0, exec_lo
	v_cmpx_gt_u32_e32 0x100, v6
	s_cbranch_execz .LBB1_13
; %bb.9:
	v_lshl_add_u32 v10, v6, 2, 0x3600
	v_dual_mov_b32 v8, 0 :: v_dual_mov_b32 v11, v6
	s_mov_b32 s3, 0
	s_branch .LBB1_11
.LBB1_10:                               ;   in Loop: Header=BB1_11 Depth=1
	s_wait_alu 0xfffe
	s_or_b32 exec_lo, exec_lo, s4
	v_add_nc_u32_e32 v12, 0x80, v11
	v_cmp_lt_u32_e32 vcc_lo, 0x7f, v11
	s_wait_loadcnt_dscnt 0x0
	ds_store_b32 v10, v7
	v_dual_mov_b32 v11, v12 :: v_dual_add_nc_u32 v10, 0x200, v10
	s_or_b32 s3, vcc_lo, s3
	s_wait_alu 0xfffe
	s_and_not1_b32 exec_lo, exec_lo, s3
	s_cbranch_execz .LBB1_13
.LBB1_11:                               ; =>This Inner Loop Header: Depth=1
	v_mov_b32_e32 v7, -1
	s_mov_b32 s4, exec_lo
	v_cmpx_lt_u32_e64 v11, v5
	s_cbranch_execz .LBB1_10
; %bb.12:                               ;   in Loop: Header=BB1_11 Depth=1
	v_add_nc_u32_e32 v7, v4, v11
	s_delay_alu instid0(VALU_DEP_1) | instskip(NEXT) | instid1(VALU_DEP_1)
	v_lshlrev_b64_e32 v[12:13], 2, v[7:8]
	v_add_co_u32 v12, vcc_lo, v0, v12
	s_wait_alu 0xfffd
	s_delay_alu instid0(VALU_DEP_2)
	v_add_co_ci_u32_e64 v13, null, v1, v13, vcc_lo
	flat_load_b32 v7, v[12:13]
	s_branch .LBB1_10
.LBB1_13:
	s_wait_alu 0xfffe
	s_or_b32 exec_lo, exec_lo, s0
	v_and_b32_e32 v1, 1, v6
	s_wait_storecnt_dscnt 0x0
	s_barrier_signal -1
	s_barrier_wait -1
	global_inv scope:SCOPE_SE
	v_cmp_eq_u32_e32 vcc_lo, 0, v1
	v_lshlrev_b32_e32 v0, 3, v6
	s_mov_b32 s3, 0
	s_mov_b32 s4, exec_lo
	ds_load_b64 v[10:11], v0 offset:13824
	s_wait_dscnt 0x0
	v_max_u32_e32 v12, v10, v11
	v_min_u32_e32 v11, v10, v11
	s_wait_alu 0xfffd
	s_delay_alu instid0(VALU_DEP_1) | instskip(NEXT) | instid1(VALU_DEP_1)
	v_dual_cndmask_b32 v10, v12, v11 :: v_dual_lshlrev_b32 v7, 1, v6
	v_sub_nc_u32_e32 v8, v7, v1
	v_cndmask_b32_e32 v11, v11, v12, vcc_lo
	s_delay_alu instid0(VALU_DEP_2)
	v_lshlrev_b32_e32 v1, 2, v8
	v_and_b32_e32 v8, 2, v6
	ds_store_b64 v0, v[10:11] offset:13824
	s_wait_loadcnt_dscnt 0x0
	s_barrier_signal -1
	s_barrier_wait -1
	v_cmp_eq_u32_e32 vcc_lo, 0, v8
	v_add_nc_u32_e32 v1, 0x3400, v1
	global_inv scope:SCOPE_SE
	ds_load_2addr_b32 v[10:11], v1 offset0:128 offset1:130
	s_wait_dscnt 0x0
	v_max_u32_e32 v12, v10, v11
	v_min_u32_e32 v10, v10, v11
	s_wait_alu 0xfffd
	s_delay_alu instid0(VALU_DEP_1)
	v_cndmask_b32_e32 v8, v12, v10, vcc_lo
	v_cndmask_b32_e32 v10, v10, v12, vcc_lo
	ds_store_2addr_b32 v1, v8, v10 offset0:128 offset1:130
	s_wait_loadcnt_dscnt 0x0
	s_barrier_signal -1
	s_barrier_wait -1
	global_inv scope:SCOPE_SE
	ds_load_b64 v[10:11], v0 offset:13824
	s_wait_dscnt 0x0
	v_max_u32_e32 v12, v10, v11
	v_min_u32_e32 v11, v10, v11
	s_delay_alu instid0(VALU_DEP_1)
	v_dual_cndmask_b32 v10, v12, v11 :: v_dual_cndmask_b32 v11, v11, v12
	v_and_b32_e32 v12, 4, v6
	ds_store_b64 v0, v[10:11] offset:13824
	v_cmp_eq_u32_e32 vcc_lo, 0, v12
	v_and_b32_e32 v8, 3, v6
	s_wait_loadcnt_dscnt 0x0
	s_barrier_signal -1
	s_barrier_wait -1
	global_inv scope:SCOPE_SE
	v_sub_nc_u32_e32 v8, v7, v8
	s_delay_alu instid0(VALU_DEP_1) | instskip(NEXT) | instid1(VALU_DEP_1)
	v_lshlrev_b32_e32 v8, 2, v8
	v_add_nc_u32_e32 v8, 0x3400, v8
	ds_load_2addr_b32 v[10:11], v8 offset0:128 offset1:132
	s_wait_dscnt 0x0
	v_max_u32_e32 v13, v10, v11
	v_min_u32_e32 v10, v10, v11
	s_wait_alu 0xfffd
	s_delay_alu instid0(VALU_DEP_1)
	v_dual_cndmask_b32 v11, v13, v10 :: v_dual_cndmask_b32 v10, v10, v13
	ds_store_2addr_b32 v8, v11, v10 offset0:128 offset1:132
	s_wait_loadcnt_dscnt 0x0
	s_barrier_signal -1
	s_barrier_wait -1
	global_inv scope:SCOPE_SE
	ds_load_2addr_b32 v[10:11], v1 offset0:128 offset1:130
	s_wait_dscnt 0x0
	v_max_u32_e32 v12, v10, v11
	v_min_u32_e32 v10, v10, v11
	s_delay_alu instid0(VALU_DEP_1)
	v_dual_cndmask_b32 v11, v12, v10 :: v_dual_cndmask_b32 v10, v10, v12
	v_and_b32_e32 v12, 7, v6
	ds_store_2addr_b32 v1, v11, v10 offset0:128 offset1:130
	s_wait_loadcnt_dscnt 0x0
	s_barrier_signal -1
	s_barrier_wait -1
	global_inv scope:SCOPE_SE
	ds_load_b64 v[10:11], v0 offset:13824
	v_sub_nc_u32_e32 v12, v7, v12
	s_wait_dscnt 0x0
	v_max_u32_e32 v13, v10, v11
	v_min_u32_e32 v11, v10, v11
	s_delay_alu instid0(VALU_DEP_1)
	v_dual_cndmask_b32 v10, v13, v11 :: v_dual_cndmask_b32 v11, v11, v13
	v_and_b32_e32 v13, 8, v6
	ds_store_b64 v0, v[10:11] offset:13824
	v_cmp_eq_u32_e32 vcc_lo, 0, v13
	v_lshlrev_b32_e32 v12, 2, v12
	s_wait_loadcnt_dscnt 0x0
	s_barrier_signal -1
	s_barrier_wait -1
	global_inv scope:SCOPE_SE
	v_add_nc_u32_e32 v12, 0x3400, v12
	ds_load_2addr_b32 v[10:11], v12 offset0:128 offset1:136
	s_wait_dscnt 0x0
	v_max_u32_e32 v14, v10, v11
	v_min_u32_e32 v10, v10, v11
	s_wait_alu 0xfffd
	s_delay_alu instid0(VALU_DEP_1)
	v_cndmask_b32_e32 v11, v14, v10, vcc_lo
	v_cndmask_b32_e32 v10, v10, v14, vcc_lo
	ds_store_2addr_b32 v12, v11, v10 offset0:128 offset1:136
	s_wait_loadcnt_dscnt 0x0
	s_barrier_signal -1
	s_barrier_wait -1
	global_inv scope:SCOPE_SE
	ds_load_2addr_b32 v[10:11], v8 offset0:128 offset1:132
	s_wait_dscnt 0x0
	v_max_u32_e32 v13, v10, v11
	v_min_u32_e32 v10, v10, v11
	s_delay_alu instid0(VALU_DEP_1)
	v_dual_cndmask_b32 v11, v13, v10 :: v_dual_cndmask_b32 v10, v10, v13
	ds_store_2addr_b32 v8, v11, v10 offset0:128 offset1:132
	s_wait_loadcnt_dscnt 0x0
	s_barrier_signal -1
	s_barrier_wait -1
	global_inv scope:SCOPE_SE
	ds_load_2addr_b32 v[10:11], v1 offset0:128 offset1:130
	s_wait_dscnt 0x0
	v_max_u32_e32 v13, v10, v11
	v_min_u32_e32 v10, v10, v11
	s_delay_alu instid0(VALU_DEP_1)
	v_dual_cndmask_b32 v11, v13, v10 :: v_dual_cndmask_b32 v10, v10, v13
	v_and_b32_e32 v13, 15, v6
	ds_store_2addr_b32 v1, v11, v10 offset0:128 offset1:130
	s_wait_loadcnt_dscnt 0x0
	s_barrier_signal -1
	s_barrier_wait -1
	global_inv scope:SCOPE_SE
	ds_load_b64 v[10:11], v0 offset:13824
	v_sub_nc_u32_e32 v13, v7, v13
	s_delay_alu instid0(VALU_DEP_1) | instskip(NEXT) | instid1(VALU_DEP_1)
	v_lshlrev_b32_e32 v13, 2, v13
	v_add_nc_u32_e32 v13, 0x3400, v13
	s_wait_dscnt 0x0
	v_max_u32_e32 v14, v10, v11
	v_min_u32_e32 v11, v10, v11
	s_delay_alu instid0(VALU_DEP_1)
	v_dual_cndmask_b32 v10, v14, v11 :: v_dual_cndmask_b32 v11, v11, v14
	v_and_b32_e32 v14, 16, v6
	ds_store_b64 v0, v[10:11] offset:13824
	s_wait_loadcnt_dscnt 0x0
	s_barrier_signal -1
	s_barrier_wait -1
	global_inv scope:SCOPE_SE
	ds_load_2addr_b32 v[10:11], v13 offset0:128 offset1:144
	v_cmp_eq_u32_e32 vcc_lo, 0, v14
	s_wait_dscnt 0x0
	v_max_u32_e32 v15, v10, v11
	v_min_u32_e32 v10, v10, v11
	s_wait_alu 0xfffd
	s_delay_alu instid0(VALU_DEP_1)
	v_dual_cndmask_b32 v11, v15, v10 :: v_dual_cndmask_b32 v10, v10, v15
	ds_store_2addr_b32 v13, v11, v10 offset0:128 offset1:144
	s_wait_loadcnt_dscnt 0x0
	s_barrier_signal -1
	s_barrier_wait -1
	global_inv scope:SCOPE_SE
	ds_load_2addr_b32 v[10:11], v12 offset0:128 offset1:136
	s_wait_dscnt 0x0
	v_max_u32_e32 v14, v10, v11
	v_min_u32_e32 v10, v10, v11
	s_delay_alu instid0(VALU_DEP_1)
	v_cndmask_b32_e32 v11, v14, v10, vcc_lo
	v_cndmask_b32_e32 v10, v10, v14, vcc_lo
	ds_store_2addr_b32 v12, v11, v10 offset0:128 offset1:136
	s_wait_loadcnt_dscnt 0x0
	s_barrier_signal -1
	s_barrier_wait -1
	global_inv scope:SCOPE_SE
	ds_load_2addr_b32 v[10:11], v8 offset0:128 offset1:132
	s_wait_dscnt 0x0
	v_max_u32_e32 v14, v10, v11
	v_min_u32_e32 v10, v10, v11
	s_delay_alu instid0(VALU_DEP_1)
	v_cndmask_b32_e32 v11, v14, v10, vcc_lo
	v_cndmask_b32_e32 v10, v10, v14, vcc_lo
	;; [unrolled: 12-line block ×3, first 2 shown]
	v_and_b32_e32 v14, 31, v6
	ds_store_2addr_b32 v1, v11, v10 offset0:128 offset1:130
	s_wait_loadcnt_dscnt 0x0
	s_barrier_signal -1
	s_barrier_wait -1
	global_inv scope:SCOPE_SE
	ds_load_b64 v[10:11], v0 offset:13824
	v_sub_nc_u32_e32 v14, v7, v14
	s_delay_alu instid0(VALU_DEP_1) | instskip(NEXT) | instid1(VALU_DEP_1)
	v_lshlrev_b32_e32 v14, 2, v14
	v_add_nc_u32_e32 v14, 0x3400, v14
	s_wait_dscnt 0x0
	v_max_u32_e32 v15, v10, v11
	v_min_u32_e32 v11, v10, v11
	s_delay_alu instid0(VALU_DEP_1)
	v_cndmask_b32_e32 v10, v15, v11, vcc_lo
	v_cndmask_b32_e32 v11, v11, v15, vcc_lo
	v_and_b32_e32 v15, 32, v6
	ds_store_b64 v0, v[10:11] offset:13824
	s_wait_loadcnt_dscnt 0x0
	s_barrier_signal -1
	s_barrier_wait -1
	global_inv scope:SCOPE_SE
	ds_load_2addr_b32 v[10:11], v14 offset0:128 offset1:160
	v_cmp_eq_u32_e32 vcc_lo, 0, v15
	s_wait_dscnt 0x0
	v_max_u32_e32 v16, v10, v11
	v_min_u32_e32 v10, v10, v11
	s_wait_alu 0xfffd
	s_delay_alu instid0(VALU_DEP_1)
	v_dual_cndmask_b32 v11, v16, v10 :: v_dual_cndmask_b32 v10, v10, v16
	ds_store_2addr_b32 v14, v11, v10 offset0:128 offset1:160
	s_wait_loadcnt_dscnt 0x0
	s_barrier_signal -1
	s_barrier_wait -1
	global_inv scope:SCOPE_SE
	ds_load_2addr_b32 v[10:11], v13 offset0:128 offset1:144
	s_wait_dscnt 0x0
	v_max_u32_e32 v15, v10, v11
	v_min_u32_e32 v10, v10, v11
	s_delay_alu instid0(VALU_DEP_1)
	v_dual_cndmask_b32 v11, v15, v10 :: v_dual_cndmask_b32 v10, v10, v15
	ds_store_2addr_b32 v13, v11, v10 offset0:128 offset1:144
	s_wait_loadcnt_dscnt 0x0
	s_barrier_signal -1
	s_barrier_wait -1
	global_inv scope:SCOPE_SE
	ds_load_2addr_b32 v[10:11], v12 offset0:128 offset1:136
	s_wait_dscnt 0x0
	v_max_u32_e32 v15, v10, v11
	v_min_u32_e32 v10, v10, v11
	;; [unrolled: 11-line block ×4, first 2 shown]
	s_delay_alu instid0(VALU_DEP_1)
	v_dual_cndmask_b32 v11, v15, v10 :: v_dual_cndmask_b32 v10, v10, v15
	v_and_b32_e32 v15, 63, v6
	ds_store_2addr_b32 v1, v11, v10 offset0:128 offset1:130
	s_wait_loadcnt_dscnt 0x0
	s_barrier_signal -1
	s_barrier_wait -1
	global_inv scope:SCOPE_SE
	ds_load_b64 v[10:11], v0 offset:13824
	v_sub_nc_u32_e32 v15, v7, v15
	s_delay_alu instid0(VALU_DEP_1) | instskip(SKIP_3) | instid1(VALU_DEP_1)
	v_lshlrev_b32_e32 v15, 2, v15
	s_wait_dscnt 0x0
	v_max_u32_e32 v16, v10, v11
	v_min_u32_e32 v11, v10, v11
	v_dual_cndmask_b32 v10, v16, v11 :: v_dual_cndmask_b32 v11, v11, v16
	v_and_b32_e32 v16, 64, v6
	ds_store_b64 v0, v[10:11] offset:13824
	s_wait_loadcnt_dscnt 0x0
	s_barrier_signal -1
	s_barrier_wait -1
	global_inv scope:SCOPE_SE
	ds_load_2addr_stride64_b32 v[10:11], v15 offset0:54 offset1:55
	v_cmp_eq_u32_e32 vcc_lo, 0, v16
	s_wait_dscnt 0x0
	v_max_u32_e32 v17, v10, v11
	v_min_u32_e32 v10, v10, v11
	s_wait_alu 0xfffd
	s_delay_alu instid0(VALU_DEP_1)
	v_dual_cndmask_b32 v11, v17, v10 :: v_dual_cndmask_b32 v10, v10, v17
	ds_store_2addr_stride64_b32 v15, v11, v10 offset0:54 offset1:55
	s_wait_loadcnt_dscnt 0x0
	s_barrier_signal -1
	s_barrier_wait -1
	global_inv scope:SCOPE_SE
	ds_load_2addr_b32 v[10:11], v14 offset0:128 offset1:160
	s_wait_dscnt 0x0
	v_max_u32_e32 v16, v10, v11
	v_min_u32_e32 v10, v10, v11
	s_delay_alu instid0(VALU_DEP_1)
	v_dual_cndmask_b32 v11, v16, v10 :: v_dual_cndmask_b32 v10, v10, v16
	ds_store_2addr_b32 v14, v11, v10 offset0:128 offset1:160
	s_wait_loadcnt_dscnt 0x0
	s_barrier_signal -1
	s_barrier_wait -1
	global_inv scope:SCOPE_SE
	ds_load_2addr_b32 v[10:11], v13 offset0:128 offset1:144
	s_wait_dscnt 0x0
	v_max_u32_e32 v16, v10, v11
	v_min_u32_e32 v10, v10, v11
	s_delay_alu instid0(VALU_DEP_1)
	v_dual_cndmask_b32 v11, v16, v10 :: v_dual_cndmask_b32 v10, v10, v16
	ds_store_2addr_b32 v13, v11, v10 offset0:128 offset1:144
	;; [unrolled: 11-line block ×4, first 2 shown]
	s_wait_loadcnt_dscnt 0x0
	s_barrier_signal -1
	s_barrier_wait -1
	global_inv scope:SCOPE_SE
	ds_load_2addr_b32 v[10:11], v1 offset0:128 offset1:130
	s_wait_dscnt 0x0
	v_max_u32_e32 v16, v10, v11
	v_min_u32_e32 v10, v10, v11
	s_delay_alu instid0(VALU_DEP_1)
	v_dual_cndmask_b32 v11, v16, v10 :: v_dual_cndmask_b32 v10, v10, v16
	v_and_b32_e32 v16, 0x7f, v6
	ds_store_2addr_b32 v1, v11, v10 offset0:128 offset1:130
	s_wait_loadcnt_dscnt 0x0
	s_barrier_signal -1
	s_barrier_wait -1
	global_inv scope:SCOPE_SE
	ds_load_b64 v[10:11], v0 offset:13824
	v_sub_nc_u32_e32 v7, v7, v16
	s_delay_alu instid0(VALU_DEP_1) | instskip(SKIP_3) | instid1(VALU_DEP_1)
	v_lshlrev_b32_e32 v7, 2, v7
	s_wait_dscnt 0x0
	v_max_u32_e32 v17, v10, v11
	v_min_u32_e32 v11, v10, v11
	v_dual_cndmask_b32 v10, v17, v11 :: v_dual_cndmask_b32 v11, v11, v17
	ds_store_b64 v0, v[10:11] offset:13824
	s_wait_loadcnt_dscnt 0x0
	s_barrier_signal -1
	s_barrier_wait -1
	global_inv scope:SCOPE_SE
	ds_load_2addr_stride64_b32 v[10:11], v7 offset0:54 offset1:56
	s_wait_dscnt 0x0
	v_min_u32_e32 v16, v10, v11
	v_max_u32_e32 v10, v10, v11
	ds_store_2addr_stride64_b32 v7, v16, v10 offset0:54 offset1:56
	s_wait_loadcnt_dscnt 0x0
	s_barrier_signal -1
	s_barrier_wait -1
	global_inv scope:SCOPE_SE
	ds_load_2addr_stride64_b32 v[10:11], v15 offset0:54 offset1:55
	s_wait_dscnt 0x0
	v_min_u32_e32 v7, v10, v11
	v_max_u32_e32 v10, v10, v11
	ds_store_2addr_stride64_b32 v15, v7, v10 offset0:54 offset1:55
	s_wait_loadcnt_dscnt 0x0
	s_barrier_signal -1
	s_barrier_wait -1
	global_inv scope:SCOPE_SE
	ds_load_2addr_b32 v[10:11], v14 offset0:128 offset1:160
	s_wait_dscnt 0x0
	v_min_u32_e32 v7, v10, v11
	v_max_u32_e32 v10, v10, v11
	ds_store_2addr_b32 v14, v7, v10 offset0:128 offset1:160
	s_wait_loadcnt_dscnt 0x0
	s_barrier_signal -1
	s_barrier_wait -1
	global_inv scope:SCOPE_SE
	ds_load_2addr_b32 v[10:11], v13 offset0:128 offset1:144
	s_wait_dscnt 0x0
	v_min_u32_e32 v7, v10, v11
	v_max_u32_e32 v10, v10, v11
	ds_store_2addr_b32 v13, v7, v10 offset0:128 offset1:144
	;; [unrolled: 9-line block ×5, first 2 shown]
	s_wait_loadcnt_dscnt 0x0
	s_barrier_signal -1
	s_barrier_wait -1
	global_inv scope:SCOPE_SE
	ds_load_b64 v[7:8], v0 offset:13824
	s_wait_dscnt 0x0
	v_min_u32_e32 v10, v7, v8
	v_max_u32_e32 v11, v7, v8
	ds_store_b64 v0, v[10:11] offset:13824
	s_wait_loadcnt_dscnt 0x0
	s_barrier_signal -1
	s_barrier_wait -1
	global_inv scope:SCOPE_SE
	v_cmpx_lt_u32_e64 v6, v5
	s_cbranch_execz .LBB1_16
; %bb.14:
	v_mov_b32_e32 v1, 0
.LBB1_15:                               ; =>This Inner Loop Header: Depth=1
	ds_load_b32 v10, v9
	v_add_nc_u32_e32 v0, v4, v6
	v_add_nc_u32_e32 v6, 0x80, v6
	;; [unrolled: 1-line block ×3, first 2 shown]
	s_delay_alu instid0(VALU_DEP_3) | instskip(NEXT) | instid1(VALU_DEP_3)
	v_lshlrev_b64_e32 v[7:8], 2, v[0:1]
	v_cmp_ge_u32_e32 vcc_lo, v6, v5
	s_wait_alu 0xfffe
	s_or_b32 s3, vcc_lo, s3
	s_delay_alu instid0(VALU_DEP_2)
	v_add_co_u32 v7, s0, v2, v7
	s_wait_alu 0xf1ff
	v_add_co_ci_u32_e64 v8, null, v3, v8, s0
	s_wait_dscnt 0x0
	flat_store_b32 v[7:8], v10
	s_wait_alu 0xfffe
	s_and_not1_b32 exec_lo, exec_lo, s3
	s_cbranch_execnz .LBB1_15
.LBB1_16:
	s_wait_alu 0xfffe
	s_or_b32 exec_lo, exec_lo, s4
.LBB1_17:
	s_wait_alu 0xfffe
	s_or_b32 exec_lo, exec_lo, s2
                                        ; implicit-def: $vgpr4
                                        ; implicit-def: $vgpr0
                                        ; implicit-def: $vgpr1
                                        ; implicit-def: $vgpr6
                                        ; implicit-def: $vgpr2
                                        ; implicit-def: $vgpr3
	s_and_not1_saveexec_b32 s1, s1
	s_cbranch_execz .LBB1_2
.LBB1_18:
	v_dual_mov_b32 v8, 0 :: v_dual_lshlrev_b32 v7, 1, v6
	v_and_b32_e32 v17, 1, v6
	s_mov_b32 s2, 0
	s_mov_b32 s3, exec_lo
	s_delay_alu instid0(VALU_DEP_2) | instskip(SKIP_2) | instid1(VALU_DEP_3)
	v_dual_mov_b32 v5, v8 :: v_dual_mov_b32 v14, v8
	v_lshlrev_b64_e32 v[11:12], 2, v[7:8]
	v_sub_nc_u32_e32 v13, v7, v17
	v_lshlrev_b64_e32 v[9:10], 2, v[4:5]
	s_delay_alu instid0(VALU_DEP_2) | instskip(SKIP_1) | instid1(VALU_DEP_3)
	v_lshlrev_b64_e32 v[15:16], 2, v[13:14]
	v_ashrrev_i32_e32 v14, 31, v13
	v_add_co_u32 v5, vcc_lo, v0, v9
	s_wait_alu 0xfffd
	s_delay_alu instid0(VALU_DEP_4) | instskip(NEXT) | instid1(VALU_DEP_3)
	v_add_co_ci_u32_e64 v23, null, v1, v10, vcc_lo
	v_lshlrev_b64_e32 v[13:14], 2, v[13:14]
	s_delay_alu instid0(VALU_DEP_3) | instskip(SKIP_1) | instid1(VALU_DEP_3)
	v_add_co_u32 v9, vcc_lo, v5, v11
	s_wait_alu 0xfffd
	v_add_co_ci_u32_e64 v10, null, v23, v12, vcc_lo
	v_cmp_eq_u32_e32 vcc_lo, 0, v17
	v_and_b32_e32 v17, 2, v6
	flat_load_b64 v[11:12], v[9:10]
	s_wait_loadcnt_dscnt 0x0
	v_max_u32_e32 v18, v11, v12
	v_min_u32_e32 v19, v11, v12
	v_add_co_u32 v11, s0, v5, v15
	s_wait_alu 0xf1ff
	v_add_co_ci_u32_e64 v12, null, v23, v16, s0
	s_wait_alu 0xfffd
	v_dual_cndmask_b32 v15, v18, v19 :: v_dual_cndmask_b32 v16, v19, v18
	v_add_co_u32 v13, vcc_lo, v5, v13
	s_wait_alu 0xfffd
	v_add_co_ci_u32_e64 v14, null, v23, v14, vcc_lo
	flat_store_b64 v[9:10], v[15:16]
	s_wait_storecnt_dscnt 0x0
	s_barrier_signal -1
	s_barrier_wait -1
	global_inv scope:SCOPE_SE
	s_clause 0x1
	flat_load_b32 v15, v[11:12]
	flat_load_b32 v16, v[13:14] offset:8
	v_cmp_eq_u32_e32 vcc_lo, 0, v17
	v_and_b32_e32 v17, 3, v6
	s_delay_alu instid0(VALU_DEP_1) | instskip(SKIP_4) | instid1(VALU_DEP_1)
	v_sub_nc_u32_e32 v17, v7, v17
	s_wait_loadcnt_dscnt 0x0
	v_max_u32_e32 v18, v15, v16
	v_min_u32_e32 v15, v15, v16
	s_wait_alu 0xfffd
	v_dual_cndmask_b32 v16, v18, v15 :: v_dual_cndmask_b32 v15, v15, v18
	s_clause 0x1
	flat_store_b32 v[11:12], v16
	flat_store_b32 v[13:14], v15 offset:8
	s_wait_storecnt_dscnt 0x0
	s_barrier_signal -1
	s_barrier_wait -1
	global_inv scope:SCOPE_SE
	flat_load_b64 v[15:16], v[9:10]
	v_mov_b32_e32 v18, v8
	s_delay_alu instid0(VALU_DEP_1) | instskip(SKIP_1) | instid1(VALU_DEP_1)
	v_lshlrev_b64_e32 v[19:20], 2, v[17:18]
	v_ashrrev_i32_e32 v18, 31, v17
	v_lshlrev_b64_e32 v[17:18], 2, v[17:18]
	s_wait_loadcnt_dscnt 0x0
	v_max_u32_e32 v21, v15, v16
	v_min_u32_e32 v22, v15, v16
	v_add_co_u32 v15, s0, v5, v19
	s_wait_alu 0xf1ff
	v_add_co_ci_u32_e64 v16, null, v23, v20, s0
	s_delay_alu instid0(VALU_DEP_3)
	v_dual_cndmask_b32 v19, v21, v22 :: v_dual_cndmask_b32 v20, v22, v21
	v_add_co_u32 v17, vcc_lo, v5, v17
	s_wait_alu 0xfffd
	v_add_co_ci_u32_e64 v18, null, v23, v18, vcc_lo
	flat_store_b64 v[9:10], v[19:20]
	s_wait_storecnt_dscnt 0x0
	s_barrier_signal -1
	s_barrier_wait -1
	global_inv scope:SCOPE_SE
	s_clause 0x1
	flat_load_b32 v19, v[15:16]
	flat_load_b32 v20, v[17:18] offset:16
	v_and_b32_e32 v21, 4, v6
	s_delay_alu instid0(VALU_DEP_1) | instskip(SKIP_4) | instid1(VALU_DEP_1)
	v_cmp_eq_u32_e32 vcc_lo, 0, v21
	s_wait_loadcnt_dscnt 0x0
	v_max_u32_e32 v22, v19, v20
	v_min_u32_e32 v19, v19, v20
	s_wait_alu 0xfffd
	v_dual_cndmask_b32 v20, v22, v19 :: v_dual_cndmask_b32 v19, v19, v22
	s_clause 0x1
	flat_store_b32 v[15:16], v20
	flat_store_b32 v[17:18], v19 offset:16
	s_wait_storecnt_dscnt 0x0
	s_barrier_signal -1
	s_barrier_wait -1
	global_inv scope:SCOPE_SE
	s_clause 0x1
	flat_load_b32 v19, v[11:12]
	flat_load_b32 v20, v[13:14] offset:8
	v_mov_b32_e32 v22, v8
	s_wait_loadcnt_dscnt 0x0
	v_max_u32_e32 v21, v19, v20
	v_min_u32_e32 v19, v19, v20
	s_delay_alu instid0(VALU_DEP_1)
	v_dual_cndmask_b32 v20, v21, v19 :: v_dual_cndmask_b32 v19, v19, v21
	s_clause 0x1
	flat_store_b32 v[11:12], v20
	flat_store_b32 v[13:14], v19 offset:8
	s_wait_storecnt_dscnt 0x0
	s_barrier_signal -1
	s_barrier_wait -1
	global_inv scope:SCOPE_SE
	flat_load_b64 v[19:20], v[9:10]
	v_and_b32_e32 v21, 7, v6
	s_delay_alu instid0(VALU_DEP_1) | instskip(NEXT) | instid1(VALU_DEP_1)
	v_sub_nc_u32_e32 v21, v7, v21
	v_lshlrev_b64_e32 v[24:25], 2, v[21:22]
	v_ashrrev_i32_e32 v22, 31, v21
	s_delay_alu instid0(VALU_DEP_1)
	v_lshlrev_b64_e32 v[21:22], 2, v[21:22]
	s_wait_loadcnt_dscnt 0x0
	v_max_u32_e32 v26, v19, v20
	v_min_u32_e32 v27, v19, v20
	v_add_co_u32 v19, s0, v5, v24
	s_wait_alu 0xf1ff
	v_add_co_ci_u32_e64 v20, null, v23, v25, s0
	s_delay_alu instid0(VALU_DEP_3)
	v_dual_cndmask_b32 v24, v26, v27 :: v_dual_cndmask_b32 v25, v27, v26
	v_add_co_u32 v21, vcc_lo, v5, v21
	s_wait_alu 0xfffd
	v_add_co_ci_u32_e64 v22, null, v23, v22, vcc_lo
	flat_store_b64 v[9:10], v[24:25]
	s_wait_storecnt_dscnt 0x0
	s_barrier_signal -1
	s_barrier_wait -1
	global_inv scope:SCOPE_SE
	s_clause 0x1
	flat_load_b32 v24, v[19:20]
	flat_load_b32 v25, v[21:22] offset:32
	s_wait_loadcnt_dscnt 0x0
	v_max_u32_e32 v27, v24, v25
	v_min_u32_e32 v24, v24, v25
	v_and_b32_e32 v26, 8, v6
	s_delay_alu instid0(VALU_DEP_1) | instskip(SKIP_1) | instid1(VALU_DEP_3)
	v_cmp_eq_u32_e32 vcc_lo, 0, v26
	s_wait_alu 0xfffd
	v_dual_cndmask_b32 v25, v27, v24 :: v_dual_cndmask_b32 v24, v24, v27
	s_clause 0x1
	flat_store_b32 v[19:20], v25
	flat_store_b32 v[21:22], v24 offset:32
	s_wait_storecnt_dscnt 0x0
	s_barrier_signal -1
	s_barrier_wait -1
	global_inv scope:SCOPE_SE
	s_clause 0x1
	flat_load_b32 v24, v[15:16]
	flat_load_b32 v25, v[17:18] offset:16
	v_mov_b32_e32 v27, v8
	s_wait_loadcnt_dscnt 0x0
	v_max_u32_e32 v26, v24, v25
	v_min_u32_e32 v24, v24, v25
	s_delay_alu instid0(VALU_DEP_1)
	v_dual_cndmask_b32 v25, v26, v24 :: v_dual_cndmask_b32 v24, v24, v26
	s_clause 0x1
	flat_store_b32 v[15:16], v25
	flat_store_b32 v[17:18], v24 offset:16
	s_wait_storecnt_dscnt 0x0
	s_barrier_signal -1
	s_barrier_wait -1
	global_inv scope:SCOPE_SE
	s_clause 0x1
	flat_load_b32 v24, v[11:12]
	flat_load_b32 v25, v[13:14] offset:8
	s_wait_loadcnt_dscnt 0x0
	v_max_u32_e32 v26, v24, v25
	v_min_u32_e32 v24, v24, v25
	s_delay_alu instid0(VALU_DEP_1)
	v_dual_cndmask_b32 v25, v26, v24 :: v_dual_cndmask_b32 v24, v24, v26
	s_clause 0x1
	flat_store_b32 v[11:12], v25
	flat_store_b32 v[13:14], v24 offset:8
	s_wait_storecnt_dscnt 0x0
	s_barrier_signal -1
	s_barrier_wait -1
	global_inv scope:SCOPE_SE
	flat_load_b64 v[24:25], v[9:10]
	v_and_b32_e32 v26, 15, v6
	s_delay_alu instid0(VALU_DEP_1) | instskip(NEXT) | instid1(VALU_DEP_1)
	v_sub_nc_u32_e32 v26, v7, v26
	v_lshlrev_b64_e32 v[28:29], 2, v[26:27]
	v_ashrrev_i32_e32 v27, 31, v26
	s_delay_alu instid0(VALU_DEP_1)
	v_lshlrev_b64_e32 v[26:27], 2, v[26:27]
	s_wait_loadcnt_dscnt 0x0
	v_max_u32_e32 v30, v24, v25
	v_min_u32_e32 v31, v24, v25
	v_add_co_u32 v24, s0, v5, v28
	s_wait_alu 0xf1ff
	v_add_co_ci_u32_e64 v25, null, v23, v29, s0
	s_delay_alu instid0(VALU_DEP_3)
	v_dual_cndmask_b32 v28, v30, v31 :: v_dual_cndmask_b32 v29, v31, v30
	v_add_co_u32 v26, vcc_lo, v5, v26
	s_wait_alu 0xfffd
	v_add_co_ci_u32_e64 v27, null, v23, v27, vcc_lo
	flat_store_b64 v[9:10], v[28:29]
	s_wait_storecnt_dscnt 0x0
	s_barrier_signal -1
	s_barrier_wait -1
	global_inv scope:SCOPE_SE
	s_clause 0x1
	flat_load_b32 v28, v[24:25]
	flat_load_b32 v29, v[26:27] offset:64
	s_wait_loadcnt_dscnt 0x0
	v_max_u32_e32 v31, v28, v29
	v_min_u32_e32 v28, v28, v29
	v_and_b32_e32 v30, 16, v6
	s_delay_alu instid0(VALU_DEP_1) | instskip(SKIP_1) | instid1(VALU_DEP_3)
	v_cmp_eq_u32_e32 vcc_lo, 0, v30
	s_wait_alu 0xfffd
	v_dual_cndmask_b32 v29, v31, v28 :: v_dual_cndmask_b32 v28, v28, v31
	s_clause 0x1
	flat_store_b32 v[24:25], v29
	flat_store_b32 v[26:27], v28 offset:64
	s_wait_storecnt_dscnt 0x0
	s_barrier_signal -1
	s_barrier_wait -1
	global_inv scope:SCOPE_SE
	s_clause 0x1
	flat_load_b32 v28, v[19:20]
	flat_load_b32 v29, v[21:22] offset:32
	v_mov_b32_e32 v31, v8
	s_wait_loadcnt_dscnt 0x0
	v_max_u32_e32 v30, v28, v29
	v_min_u32_e32 v28, v28, v29
	s_delay_alu instid0(VALU_DEP_1)
	v_dual_cndmask_b32 v29, v30, v28 :: v_dual_cndmask_b32 v28, v28, v30
	s_clause 0x1
	flat_store_b32 v[19:20], v29
	flat_store_b32 v[21:22], v28 offset:32
	s_wait_storecnt_dscnt 0x0
	s_barrier_signal -1
	s_barrier_wait -1
	global_inv scope:SCOPE_SE
	s_clause 0x1
	flat_load_b32 v28, v[15:16]
	flat_load_b32 v29, v[17:18] offset:16
	s_wait_loadcnt_dscnt 0x0
	v_max_u32_e32 v30, v28, v29
	v_min_u32_e32 v28, v28, v29
	s_delay_alu instid0(VALU_DEP_1)
	v_dual_cndmask_b32 v29, v30, v28 :: v_dual_cndmask_b32 v28, v28, v30
	s_clause 0x1
	flat_store_b32 v[15:16], v29
	flat_store_b32 v[17:18], v28 offset:16
	s_wait_storecnt_dscnt 0x0
	s_barrier_signal -1
	s_barrier_wait -1
	global_inv scope:SCOPE_SE
	s_clause 0x1
	flat_load_b32 v28, v[11:12]
	flat_load_b32 v29, v[13:14] offset:8
	s_wait_loadcnt_dscnt 0x0
	v_max_u32_e32 v30, v28, v29
	v_min_u32_e32 v28, v28, v29
	s_delay_alu instid0(VALU_DEP_1)
	v_dual_cndmask_b32 v29, v30, v28 :: v_dual_cndmask_b32 v28, v28, v30
	s_clause 0x1
	flat_store_b32 v[11:12], v29
	flat_store_b32 v[13:14], v28 offset:8
	s_wait_storecnt_dscnt 0x0
	s_barrier_signal -1
	s_barrier_wait -1
	global_inv scope:SCOPE_SE
	flat_load_b64 v[28:29], v[9:10]
	v_and_b32_e32 v30, 31, v6
	s_delay_alu instid0(VALU_DEP_1) | instskip(NEXT) | instid1(VALU_DEP_1)
	v_sub_nc_u32_e32 v30, v7, v30
	v_lshlrev_b64_e32 v[32:33], 2, v[30:31]
	v_ashrrev_i32_e32 v31, 31, v30
	s_delay_alu instid0(VALU_DEP_1)
	v_lshlrev_b64_e32 v[30:31], 2, v[30:31]
	s_wait_loadcnt_dscnt 0x0
	v_max_u32_e32 v34, v28, v29
	v_min_u32_e32 v35, v28, v29
	v_add_co_u32 v28, s0, v5, v32
	s_wait_alu 0xf1ff
	v_add_co_ci_u32_e64 v29, null, v23, v33, s0
	s_delay_alu instid0(VALU_DEP_3)
	v_dual_cndmask_b32 v32, v34, v35 :: v_dual_cndmask_b32 v33, v35, v34
	v_add_co_u32 v30, vcc_lo, v5, v30
	s_wait_alu 0xfffd
	v_add_co_ci_u32_e64 v31, null, v23, v31, vcc_lo
	flat_store_b64 v[9:10], v[32:33]
	s_wait_storecnt_dscnt 0x0
	s_barrier_signal -1
	s_barrier_wait -1
	global_inv scope:SCOPE_SE
	s_clause 0x1
	flat_load_b32 v32, v[28:29]
	flat_load_b32 v33, v[30:31] offset:128
	s_wait_loadcnt_dscnt 0x0
	v_max_u32_e32 v35, v32, v33
	v_min_u32_e32 v32, v32, v33
	v_and_b32_e32 v34, 32, v6
	s_delay_alu instid0(VALU_DEP_1) | instskip(SKIP_1) | instid1(VALU_DEP_3)
	v_cmp_eq_u32_e32 vcc_lo, 0, v34
	s_wait_alu 0xfffd
	v_dual_cndmask_b32 v33, v35, v32 :: v_dual_cndmask_b32 v32, v32, v35
	s_clause 0x1
	flat_store_b32 v[28:29], v33
	flat_store_b32 v[30:31], v32 offset:128
	s_wait_storecnt_dscnt 0x0
	s_barrier_signal -1
	s_barrier_wait -1
	global_inv scope:SCOPE_SE
	s_clause 0x1
	flat_load_b32 v32, v[24:25]
	flat_load_b32 v33, v[26:27] offset:64
	v_mov_b32_e32 v35, v8
	s_wait_loadcnt_dscnt 0x0
	v_max_u32_e32 v34, v32, v33
	v_min_u32_e32 v32, v32, v33
	s_delay_alu instid0(VALU_DEP_1)
	v_dual_cndmask_b32 v33, v34, v32 :: v_dual_cndmask_b32 v32, v32, v34
	s_clause 0x1
	flat_store_b32 v[24:25], v33
	flat_store_b32 v[26:27], v32 offset:64
	s_wait_storecnt_dscnt 0x0
	s_barrier_signal -1
	s_barrier_wait -1
	global_inv scope:SCOPE_SE
	s_clause 0x1
	flat_load_b32 v32, v[19:20]
	flat_load_b32 v33, v[21:22] offset:32
	s_wait_loadcnt_dscnt 0x0
	v_max_u32_e32 v34, v32, v33
	v_min_u32_e32 v32, v32, v33
	s_delay_alu instid0(VALU_DEP_1)
	v_dual_cndmask_b32 v33, v34, v32 :: v_dual_cndmask_b32 v32, v32, v34
	s_clause 0x1
	flat_store_b32 v[19:20], v33
	flat_store_b32 v[21:22], v32 offset:32
	s_wait_storecnt_dscnt 0x0
	s_barrier_signal -1
	s_barrier_wait -1
	global_inv scope:SCOPE_SE
	s_clause 0x1
	flat_load_b32 v32, v[15:16]
	flat_load_b32 v33, v[17:18] offset:16
	;; [unrolled: 15-line block ×3, first 2 shown]
	s_wait_loadcnt_dscnt 0x0
	v_max_u32_e32 v34, v32, v33
	v_min_u32_e32 v32, v32, v33
	s_delay_alu instid0(VALU_DEP_1)
	v_dual_cndmask_b32 v33, v34, v32 :: v_dual_cndmask_b32 v32, v32, v34
	s_clause 0x1
	flat_store_b32 v[11:12], v33
	flat_store_b32 v[13:14], v32 offset:8
	s_wait_storecnt_dscnt 0x0
	s_barrier_signal -1
	s_barrier_wait -1
	global_inv scope:SCOPE_SE
	flat_load_b64 v[32:33], v[9:10]
	v_and_b32_e32 v34, 63, v6
	s_delay_alu instid0(VALU_DEP_1) | instskip(NEXT) | instid1(VALU_DEP_1)
	v_sub_nc_u32_e32 v34, v7, v34
	v_lshlrev_b64_e32 v[36:37], 2, v[34:35]
	v_ashrrev_i32_e32 v35, 31, v34
	s_delay_alu instid0(VALU_DEP_1)
	v_lshlrev_b64_e32 v[34:35], 2, v[34:35]
	s_wait_loadcnt_dscnt 0x0
	v_max_u32_e32 v38, v32, v33
	v_min_u32_e32 v39, v32, v33
	v_add_co_u32 v32, s0, v5, v36
	s_wait_alu 0xf1ff
	v_add_co_ci_u32_e64 v33, null, v23, v37, s0
	s_delay_alu instid0(VALU_DEP_3)
	v_dual_cndmask_b32 v36, v38, v39 :: v_dual_cndmask_b32 v37, v39, v38
	v_add_co_u32 v34, vcc_lo, v5, v34
	s_wait_alu 0xfffd
	v_add_co_ci_u32_e64 v35, null, v23, v35, vcc_lo
	flat_store_b64 v[9:10], v[36:37]
	s_wait_storecnt_dscnt 0x0
	s_barrier_signal -1
	s_barrier_wait -1
	global_inv scope:SCOPE_SE
	s_clause 0x1
	flat_load_b32 v36, v[32:33]
	flat_load_b32 v37, v[34:35] offset:256
	s_wait_loadcnt_dscnt 0x0
	v_max_u32_e32 v39, v36, v37
	v_min_u32_e32 v36, v36, v37
	v_and_b32_e32 v38, 64, v6
	s_delay_alu instid0(VALU_DEP_1) | instskip(SKIP_1) | instid1(VALU_DEP_3)
	v_cmp_eq_u32_e32 vcc_lo, 0, v38
	s_wait_alu 0xfffd
	v_dual_cndmask_b32 v37, v39, v36 :: v_dual_cndmask_b32 v36, v36, v39
	s_clause 0x1
	flat_store_b32 v[32:33], v37
	flat_store_b32 v[34:35], v36 offset:256
	s_wait_storecnt_dscnt 0x0
	s_barrier_signal -1
	s_barrier_wait -1
	global_inv scope:SCOPE_SE
	s_clause 0x1
	flat_load_b32 v36, v[28:29]
	flat_load_b32 v37, v[30:31] offset:128
	s_wait_loadcnt_dscnt 0x0
	v_max_u32_e32 v38, v36, v37
	v_min_u32_e32 v36, v36, v37
	s_delay_alu instid0(VALU_DEP_1)
	v_dual_cndmask_b32 v37, v38, v36 :: v_dual_cndmask_b32 v36, v36, v38
	s_clause 0x1
	flat_store_b32 v[28:29], v37
	flat_store_b32 v[30:31], v36 offset:128
	s_wait_storecnt_dscnt 0x0
	s_barrier_signal -1
	s_barrier_wait -1
	global_inv scope:SCOPE_SE
	s_clause 0x1
	flat_load_b32 v36, v[24:25]
	flat_load_b32 v37, v[26:27] offset:64
	s_wait_loadcnt_dscnt 0x0
	v_max_u32_e32 v38, v36, v37
	v_min_u32_e32 v36, v36, v37
	s_delay_alu instid0(VALU_DEP_1)
	;; [unrolled: 15-line block ×5, first 2 shown]
	v_dual_cndmask_b32 v37, v38, v36 :: v_dual_cndmask_b32 v36, v36, v38
	s_clause 0x1
	flat_store_b32 v[11:12], v37
	flat_store_b32 v[13:14], v36 offset:8
	s_wait_storecnt_dscnt 0x0
	s_barrier_signal -1
	s_barrier_wait -1
	global_inv scope:SCOPE_SE
	flat_load_b64 v[36:37], v[9:10]
	s_wait_loadcnt_dscnt 0x0
	v_min_u32_e32 v50, v36, v37
	v_and_b32_e32 v38, 0x7f, v6
	s_delay_alu instid0(VALU_DEP_1) | instskip(NEXT) | instid1(VALU_DEP_1)
	v_sub_nc_u32_e32 v7, v7, v38
	v_ashrrev_i32_e32 v39, 31, v7
	v_mov_b32_e32 v38, v7
	v_lshlrev_b64_e32 v[48:49], 2, v[7:8]
	v_max_u32_e32 v7, v36, v37
	s_delay_alu instid0(VALU_DEP_3) | instskip(NEXT) | instid1(VALU_DEP_3)
	v_lshlrev_b64_e32 v[38:39], 2, v[38:39]
	v_add_co_u32 v36, s0, v5, v48
	s_wait_alu 0xf1ff
	s_delay_alu instid0(VALU_DEP_4) | instskip(SKIP_1) | instid1(VALU_DEP_4)
	v_add_co_ci_u32_e64 v37, null, v23, v49, s0
	v_dual_cndmask_b32 v48, v7, v50 :: v_dual_cndmask_b32 v49, v50, v7
	v_add_co_u32 v38, vcc_lo, v5, v38
	s_wait_alu 0xfffd
	v_add_co_ci_u32_e64 v39, null, v23, v39, vcc_lo
	flat_store_b64 v[9:10], v[48:49]
	s_wait_storecnt_dscnt 0x0
	s_barrier_signal -1
	s_barrier_wait -1
	global_inv scope:SCOPE_SE
	s_clause 0x1
	flat_load_b32 v5, v[36:37]
	flat_load_b32 v7, v[38:39] offset:512
	s_wait_loadcnt_dscnt 0x0
	v_min_u32_e32 v23, v5, v7
	v_max_u32_e32 v5, v5, v7
	s_clause 0x1
	flat_store_b32 v[36:37], v23
	flat_store_b32 v[38:39], v5 offset:512
	s_wait_storecnt_dscnt 0x0
	s_barrier_signal -1
	s_barrier_wait -1
	global_inv scope:SCOPE_SE
	s_clause 0x1
	flat_load_b32 v5, v[32:33]
	flat_load_b32 v7, v[34:35] offset:256
	s_wait_loadcnt_dscnt 0x0
	v_min_u32_e32 v23, v5, v7
	v_max_u32_e32 v5, v5, v7
	s_clause 0x1
	flat_store_b32 v[32:33], v23
	flat_store_b32 v[34:35], v5 offset:256
	;; [unrolled: 13-line block ×7, first 2 shown]
	s_wait_storecnt_dscnt 0x0
	s_barrier_signal -1
	s_barrier_wait -1
	global_inv scope:SCOPE_SE
	flat_load_b64 v[11:12], v[9:10]
	s_wait_loadcnt_dscnt 0x0
	v_min_u32_e32 v13, v11, v12
	v_max_u32_e32 v14, v11, v12
	flat_store_b64 v[9:10], v[13:14]
	s_wait_storecnt_dscnt 0x0
	s_barrier_signal -1
	s_barrier_wait -1
	global_inv scope:SCOPE_SE
	v_cmpx_gt_u32_e32 0x100, v6
	s_cbranch_execz .LBB1_20
.LBB1_19:                               ; =>This Inner Loop Header: Depth=1
	v_add_nc_u32_e32 v7, v4, v6
	s_delay_alu instid0(VALU_DEP_1) | instskip(SKIP_1) | instid1(VALU_DEP_2)
	v_lshlrev_b64_e32 v[9:10], 2, v[7:8]
	v_add_nc_u32_e32 v7, 0x80, v6
	v_add_co_u32 v11, vcc_lo, v0, v9
	s_wait_alu 0xfffd
	s_delay_alu instid0(VALU_DEP_3)
	v_add_co_ci_u32_e64 v12, null, v1, v10, vcc_lo
	v_cmp_lt_u32_e32 vcc_lo, 0x7f, v6
	v_add_co_u32 v9, s0, v2, v9
	flat_load_b32 v5, v[11:12]
	s_wait_alu 0xf1ff
	v_add_co_ci_u32_e64 v10, null, v3, v10, s0
	v_mov_b32_e32 v6, v7
	s_wait_alu 0xfffe
	s_or_b32 s2, vcc_lo, s2
	s_wait_loadcnt_dscnt 0x0
	flat_store_b32 v[9:10], v5
	s_wait_alu 0xfffe
	s_and_not1_b32 exec_lo, exec_lo, s2
	s_cbranch_execnz .LBB1_19
.LBB1_20:
	s_wait_alu 0xfffe
	s_or_b32 exec_lo, exec_lo, s3
	s_delay_alu instid0(SALU_CYCLE_1)
	s_or_b32 exec_lo, exec_lo, s1
	s_wait_loadcnt_dscnt 0x0
	s_setpc_b64 s[30:31]
.Lfunc_end1:
	.size	_Z14sort_thresholdIjEvPT_S1_jjS1_j, .Lfunc_end1-_Z14sort_thresholdIjEvPT_S1_jjS1_j
                                        ; -- End function
	.set .L_Z14sort_thresholdIjEvPT_S1_jjS1_j.num_vgpr, 51
	.set .L_Z14sort_thresholdIjEvPT_S1_jjS1_j.num_agpr, 0
	.set .L_Z14sort_thresholdIjEvPT_S1_jjS1_j.numbered_sgpr, 32
	.set .L_Z14sort_thresholdIjEvPT_S1_jjS1_j.num_named_barrier, 0
	.set .L_Z14sort_thresholdIjEvPT_S1_jjS1_j.private_seg_size, 0
	.set .L_Z14sort_thresholdIjEvPT_S1_jjS1_j.uses_vcc, 1
	.set .L_Z14sort_thresholdIjEvPT_S1_jjS1_j.uses_flat_scratch, 1
	.set .L_Z14sort_thresholdIjEvPT_S1_jjS1_j.has_dyn_sized_stack, 0
	.set .L_Z14sort_thresholdIjEvPT_S1_jjS1_j.has_recursion, 0
	.set .L_Z14sort_thresholdIjEvPT_S1_jjS1_j.has_indirect_call, 0
	.section	.AMDGPU.csdata,"",@progbits
; Function info:
; codeLenInByte = 7252
; TotalNumSgprs: 34
; NumVgprs: 51
; ScratchSize: 0
; MemoryBound: 0
	.section	.text._Z13lqsort_kernelIjEvPT_S1_P11work_recordIS0_E,"axG",@progbits,_Z13lqsort_kernelIjEvPT_S1_P11work_recordIS0_E,comdat
	.protected	_Z13lqsort_kernelIjEvPT_S1_P11work_recordIS0_E ; -- Begin function _Z13lqsort_kernelIjEvPT_S1_P11work_recordIS0_E
	.globl	_Z13lqsort_kernelIjEvPT_S1_P11work_recordIS0_E
	.p2align	8
	.type	_Z13lqsort_kernelIjEvPT_S1_P11work_recordIS0_E,@function
_Z13lqsort_kernelIjEvPT_S1_P11work_recordIS0_E: ; @_Z13lqsort_kernelIjEvPT_S1_P11work_recordIS0_E
; %bb.0:
	s_clause 0x1
	s_load_b64 s[4:5], s[0:1], 0x10
	s_load_b128 s[16:19], s[0:1], 0x0
	s_mov_b32 s2, ttmp9
	s_mov_b32 s3, 0
	v_mov_b32_e32 v42, v0
	v_mov_b32_e32 v0, 0
	s_lshl_b64 s[2:3], s[2:3], 4
	s_mov_b32 s32, 0
	s_wait_kmcnt 0x0
	s_add_nc_u64 s[2:3], s[4:5], s[2:3]
	v_cmp_eq_u32_e64 s5, 0, v42
	s_clause 0x1
	global_load_b64 v[45:46], v0, s[2:3]
	global_load_b32 v3, v0, s[2:3] offset:12
	s_wait_loadcnt 0x1
	v_sub_nc_u32_e32 v1, v46, v45
	s_and_saveexec_b32 s2, s5
	s_cbranch_execz .LBB2_2
; %bb.1:
	v_mov_b32_e32 v2, 1
	ds_store_b32 v0, v0 offset:15364
	ds_store_b96 v0, v[0:2] offset:15904
.LBB2_2:
	s_or_b32 exec_lo, exec_lo, s2
	s_wait_loadcnt 0x0
	v_cmp_eq_u32_e32 vcc_lo, 1, v3
	v_cmp_lt_u32_e64 s2, v42, v1
	s_mov_b32 s3, -1
	s_cbranch_vccnz .LBB2_7
; %bb.3:
	s_and_saveexec_b32 s3, s2
	s_cbranch_execz .LBB2_6
; %bb.4:
	v_dual_mov_b32 v3, 0 :: v_dual_lshlrev_b32 v0, 2, v42
	v_mov_b32_e32 v4, v42
	s_mov_b32 s4, 0
.LBB2_5:                                ; =>This Inner Loop Header: Depth=1
	s_delay_alu instid0(VALU_DEP_1) | instskip(SKIP_1) | instid1(VALU_DEP_2)
	v_add_nc_u32_e32 v2, v45, v4
	v_add_nc_u32_e32 v4, 0x80, v4
	v_lshlrev_b64_e32 v[5:6], 2, v[2:3]
	s_delay_alu instid0(VALU_DEP_1) | instskip(SKIP_1) | instid1(VALU_DEP_2)
	v_add_co_u32 v5, vcc_lo, s18, v5
	s_wait_alu 0xfffd
	v_add_co_ci_u32_e64 v6, null, s19, v6, vcc_lo
	v_cmp_ge_u32_e32 vcc_lo, v4, v1
	global_load_b32 v2, v[5:6], off
	s_or_b32 s4, vcc_lo, s4
	s_wait_loadcnt 0x0
	ds_store_b32 v0, v2
	v_add_nc_u32_e32 v0, 0x200, v0
	s_and_not1_b32 exec_lo, exec_lo, s4
	s_cbranch_execnz .LBB2_5
.LBB2_6:
	s_or_b32 exec_lo, exec_lo, s3
	s_mov_b32 s3, 0
.LBB2_7:
	s_delay_alu instid0(SALU_CYCLE_1)
	s_and_not1_b32 vcc_lo, exec_lo, s3
	s_wait_alu 0xfffe
	s_cbranch_vccnz .LBB2_12
; %bb.8:
	s_and_saveexec_b32 s3, s2
	s_cbranch_execz .LBB2_11
; %bb.9:
	v_dual_mov_b32 v3, 0 :: v_dual_lshlrev_b32 v0, 2, v42
	v_mov_b32_e32 v4, v42
	s_mov_b32 s2, 0
.LBB2_10:                               ; =>This Inner Loop Header: Depth=1
	s_delay_alu instid0(VALU_DEP_1) | instskip(SKIP_1) | instid1(VALU_DEP_2)
	v_add_nc_u32_e32 v2, v45, v4
	v_add_nc_u32_e32 v4, 0x80, v4
	v_lshlrev_b64_e32 v[5:6], 2, v[2:3]
	s_delay_alu instid0(VALU_DEP_1) | instskip(SKIP_1) | instid1(VALU_DEP_2)
	v_add_co_u32 v5, vcc_lo, s16, v5
	s_wait_alu 0xfffd
	v_add_co_ci_u32_e64 v6, null, s17, v6, vcc_lo
	v_cmp_ge_u32_e32 vcc_lo, v4, v1
	global_load_b32 v2, v[5:6], off
	s_or_b32 s2, vcc_lo, s2
	s_wait_loadcnt 0x0
	ds_store_b32 v0, v2
	v_add_nc_u32_e32 v0, 0x200, v0
	s_and_not1_b32 exec_lo, exec_lo, s2
	s_cbranch_execnz .LBB2_10
.LBB2_11:
	s_or_b32 exec_lo, exec_lo, s3
.LBB2_12:
	v_mov_b32_e32 v47, 0
	s_wait_dscnt 0x0
	s_barrier_signal -1
	s_barrier_wait -1
	global_inv scope:SCOPE_SE
	ds_load_b32 v0, v47 offset:15364
	s_wait_dscnt 0x0
	v_cmp_gt_i32_e32 vcc_lo, 0, v0
	s_cbranch_vccnz .LBB2_75
; %bb.13:
	v_dual_mov_b32 v46, v47 :: v_dual_lshlrev_b32 v3, 2, v42
	v_and_b32_e32 v4, 1, v42
	v_and_b32_e32 v5, 3, v42
	s_mov_b64 s[14:15], src_shared_base
	s_delay_alu instid0(VALU_DEP_3)
	v_lshlrev_b64_e32 v[1:2], 2, v[45:46]
	v_add_nc_u32_e32 v51, 0x3a00, v3
	v_add_nc_u32_e32 v52, 0x3c10, v3
	v_cmp_eq_u32_e64 s6, 1, v4
	v_add_nc_u32_e32 v53, 0x3c0c, v3
	v_add_nc_u32_e32 v54, 0x39fc, v3
	v_add_co_u32 v43, vcc_lo, s16, v1
	v_and_b32_e32 v1, 7, v42
	s_wait_alu 0xfffd
	v_add_co_ci_u32_e64 v44, null, s17, v2, vcc_lo
	v_and_b32_e32 v2, 15, v42
	v_cmp_eq_u32_e64 s7, 3, v5
	v_cmp_eq_u32_e64 s10, 7, v1
	v_and_b32_e32 v1, 31, v42
	v_add_nc_u32_e32 v55, 0x3c08, v3
	v_cmp_eq_u32_e64 s11, 15, v2
	v_and_b32_e32 v2, 63, v42
	v_add_nc_u32_e32 v56, 0x39f8, v3
	;; [unrolled: 3-line block ×3, first 2 shown]
	v_add_nc_u32_e32 v58, 0x39f0, v3
	v_add_nc_u32_e32 v59, 0x3bf0, v3
	;; [unrolled: 1-line block ×5, first 2 shown]
	v_cmp_eq_u32_e64 s13, 63, v2
	v_add_nc_u32_e32 v63, 0x3b90, v3
	v_add_nc_u32_e32 v64, 0x3980, v3
	v_cmp_eq_u32_e64 s14, 0x7f, v1
	v_add_nc_u32_e32 v65, 0x3b10, v3
	v_add_nc_u32_e32 v66, 0x3900, v3
	v_add_nc_u32_e64 v67, 0x3c00, 0
	v_add_nc_u32_e64 v68, 0x3800, 0
	s_add_nc_u64 s[8:9], s[0:1], 24
	s_branch .LBB2_15
.LBB2_14:                               ;   in Loop: Header=BB2_15 Depth=1
	ds_load_b32 v0, v47 offset:15364
	s_wait_dscnt 0x0
	v_cmp_lt_i32_e32 vcc_lo, -1, v0
	s_cbranch_vccz .LBB2_75
.LBB2_15:                               ; =>This Loop Header: Depth=1
                                        ;     Child Loop BB2_21 Depth 2
                                        ;     Child Loop BB2_56 Depth 2
	;; [unrolled: 1-line block ×3, first 2 shown]
	v_mul_lo_u32 v0, v0, 12
	s_delay_alu instid0(VALU_DEP_1)
	v_add_nc_u32_e32 v1, 0x3e20, v0
	ds_load_2addr_b32 v[40:41], v1 offset1:1
	ds_load_b32 v69, v0 offset:15912
	s_wait_loadcnt_dscnt 0x0
	s_barrier_signal -1
	s_barrier_wait -1
	global_inv scope:SCOPE_SE
	s_and_saveexec_b32 s0, s5
	s_cbranch_execz .LBB2_17
; %bb.16:                               ;   in Loop: Header=BB2_15 Depth=1
	ds_load_b32 v0, v47 offset:15364
	s_wait_dscnt 0x0
	v_add_nc_u32_e32 v0, -1, v0
	ds_store_2addr_b32 v67, v0, v47 offset0:1 offset1:133
	ds_store_b32 v47, v47 offset:15976
.LBB2_17:                               ;   in Loop: Header=BB2_15 Depth=1
	s_wait_alu 0xfffe
	s_or_b32 exec_lo, exec_lo, s0
	v_cmp_eq_u32_e32 vcc_lo, 1, v69
	v_dual_mov_b32 v1, s15 :: v_dual_mov_b32 v46, v40
	v_mov_b32_e32 v3, s15
	s_wait_alu 0xfffd
	v_cndmask_b32_e64 v0, 0x1b00, 0, vcc_lo
	v_cndmask_b32_e64 v2, 0, 0x1b00, vcc_lo
	ds_store_b32 v51, v47
	ds_store_b32 v52, v47
	ds_store_2addr_b64 v68, v[0:1], v[2:3] offset0:129 offset1:195
	s_wait_loadcnt_dscnt 0x0
	s_barrier_signal -1
	s_barrier_wait -1
	global_inv scope:SCOPE_SE
	ds_load_b64 v[0:1], v47 offset:15368
	v_lshlrev_b64_e32 v[2:3], 2, v[46:47]
	s_wait_dscnt 0x0
	s_delay_alu instid0(VALU_DEP_1) | instskip(SKIP_1) | instid1(VALU_DEP_2)
	v_add_co_u32 v2, vcc_lo, v0, v2
	s_wait_alu 0xfffd
	v_add_co_ci_u32_e64 v3, null, v1, v3, vcc_lo
	v_cmp_ge_u32_e32 vcc_lo, v40, v41
	flat_load_b32 v8, v[2:3]
	s_cbranch_vccnz .LBB2_19
; %bb.18:                               ;   in Loop: Header=BB2_15 Depth=1
	v_add_nc_u32_e32 v2, v41, v40
	s_delay_alu instid0(VALU_DEP_1) | instskip(NEXT) | instid1(VALU_DEP_1)
	v_lshrrev_b32_e32 v46, 1, v2
	v_lshlrev_b64_e32 v[2:3], 2, v[46:47]
	v_add_nc_u32_e32 v46, -1, v41
	s_delay_alu instid0(VALU_DEP_1) | instskip(NEXT) | instid1(VALU_DEP_3)
	v_lshlrev_b64_e32 v[4:5], 2, v[46:47]
	v_add_co_u32 v2, vcc_lo, v0, v2
	s_wait_alu 0xfffd
	s_delay_alu instid0(VALU_DEP_4) | instskip(NEXT) | instid1(VALU_DEP_3)
	v_add_co_ci_u32_e64 v3, null, v1, v3, vcc_lo
	v_add_co_u32 v4, vcc_lo, v0, v4
	s_wait_alu 0xfffd
	v_add_co_ci_u32_e64 v5, null, v1, v5, vcc_lo
	s_clause 0x1
	flat_load_b32 v2, v[2:3]
	flat_load_b32 v3, v[4:5]
	s_wait_loadcnt_dscnt 0x101
	v_max_u32_e32 v4, v8, v2
	s_wait_loadcnt_dscnt 0x0
	v_minmax_u32 v2, v8, v2, v3
	s_delay_alu instid0(VALU_DEP_2) | instskip(SKIP_1) | instid1(VALU_DEP_2)
	v_cmp_lt_u32_e32 vcc_lo, v4, v3
	s_wait_alu 0xfffd
	v_cndmask_b32_e32 v8, v2, v4, vcc_lo
.LBB2_19:                               ;   in Loop: Header=BB2_15 Depth=1
	v_dual_mov_b32 v2, 0 :: v_dual_add_nc_u32 v9, v40, v42
	v_mov_b32_e32 v3, 0
	s_delay_alu instid0(VALU_DEP_2)
	v_cmp_lt_u32_e32 vcc_lo, v9, v41
	s_and_saveexec_b32 s2, vcc_lo
	s_cbranch_execz .LBB2_23
; %bb.20:                               ;   in Loop: Header=BB2_15 Depth=1
	v_dual_mov_b32 v2, 0 :: v_dual_mov_b32 v3, 0
	v_mov_b32_e32 v46, v9
	s_mov_b32 s3, 0
.LBB2_21:                               ;   Parent Loop BB2_15 Depth=1
                                        ; =>  This Inner Loop Header: Depth=2
	s_delay_alu instid0(VALU_DEP_1) | instskip(SKIP_1) | instid1(VALU_DEP_2)
	v_lshlrev_b64_e32 v[4:5], 2, v[46:47]
	v_add_nc_u32_e32 v46, 0x80, v46
	v_add_co_u32 v4, s0, v0, v4
	s_wait_alu 0xf1ff
	s_delay_alu instid0(VALU_DEP_3) | instskip(NEXT) | instid1(VALU_DEP_3)
	v_add_co_ci_u32_e64 v5, null, v1, v5, s0
	v_cmp_ge_u32_e64 s0, v46, v41
	flat_load_b32 v4, v[4:5]
	s_wait_alu 0xfffe
	s_or_b32 s3, s0, s3
	s_wait_loadcnt_dscnt 0x0
	v_cmp_lt_u32_e64 s1, v4, v8
	s_wait_alu 0xf1ff
	s_delay_alu instid0(VALU_DEP_1) | instskip(SKIP_2) | instid1(VALU_DEP_1)
	v_add_co_ci_u32_e64 v2, null, 0, v2, s1
	v_cmp_gt_u32_e64 s1, v4, v8
	s_wait_alu 0xf1ff
	v_add_co_ci_u32_e64 v3, null, 0, v3, s1
	s_wait_alu 0xfffe
	s_and_not1_b32 exec_lo, exec_lo, s3
	s_cbranch_execnz .LBB2_21
; %bb.22:                               ;   in Loop: Header=BB2_15 Depth=1
	s_or_b32 exec_lo, exec_lo, s3
.LBB2_23:                               ;   in Loop: Header=BB2_15 Depth=1
	s_wait_alu 0xfffe
	s_or_b32 exec_lo, exec_lo, s2
	ds_store_b32 v52, v2
	ds_store_b32 v51, v3
	s_wait_loadcnt_dscnt 0x0
	s_barrier_signal -1
	s_barrier_wait -1
	global_inv scope:SCOPE_SE
	s_and_saveexec_b32 s0, s6
	s_cbranch_execz .LBB2_25
; %bb.24:                               ;   in Loop: Header=BB2_15 Depth=1
	ds_load_2addr_b32 v[0:1], v53 offset1:1
	ds_load_2addr_b32 v[2:3], v54 offset1:1
	s_wait_dscnt 0x1
	v_add_nc_u32_e32 v0, v1, v0
	s_wait_dscnt 0x0
	v_add_nc_u32_e32 v1, v3, v2
	ds_store_b32 v52, v0
	ds_store_b32 v51, v1
.LBB2_25:                               ;   in Loop: Header=BB2_15 Depth=1
	s_wait_alu 0xfffe
	s_or_b32 exec_lo, exec_lo, s0
	s_wait_loadcnt_dscnt 0x0
	s_barrier_signal -1
	s_barrier_wait -1
	global_inv scope:SCOPE_SE
	s_and_saveexec_b32 s0, s7
	s_cbranch_execz .LBB2_27
; %bb.26:                               ;   in Loop: Header=BB2_15 Depth=1
	ds_load_b32 v0, v55
	ds_load_b32 v1, v56
	ds_load_b32 v2, v52
	ds_load_b32 v3, v51
	s_wait_dscnt 0x1
	v_add_nc_u32_e32 v0, v2, v0
	s_wait_dscnt 0x0
	v_add_nc_u32_e32 v1, v3, v1
	ds_store_b32 v52, v0
	ds_store_b32 v51, v1
.LBB2_27:                               ;   in Loop: Header=BB2_15 Depth=1
	s_wait_alu 0xfffe
	s_or_b32 exec_lo, exec_lo, s0
	s_wait_loadcnt_dscnt 0x0
	s_barrier_signal -1
	s_barrier_wait -1
	global_inv scope:SCOPE_SE
	s_and_saveexec_b32 s0, s10
	s_cbranch_execz .LBB2_29
; %bb.28:                               ;   in Loop: Header=BB2_15 Depth=1
	ds_load_b32 v0, v57
	ds_load_b32 v1, v58
	ds_load_b32 v2, v52
	ds_load_b32 v3, v51
	s_wait_dscnt 0x1
	v_add_nc_u32_e32 v0, v2, v0
	s_wait_dscnt 0x0
	v_add_nc_u32_e32 v1, v3, v1
	ds_store_b32 v52, v0
	ds_store_b32 v51, v1
.LBB2_29:                               ;   in Loop: Header=BB2_15 Depth=1
	;; [unrolled: 20-line block ×6, first 2 shown]
	s_wait_alu 0xfffe
	s_or_b32 exec_lo, exec_lo, s0
	s_wait_loadcnt_dscnt 0x0
	s_barrier_signal -1
	s_barrier_wait -1
	global_inv scope:SCOPE_SE
	s_and_saveexec_b32 s0, s14
	s_cbranch_execz .LBB2_39
; %bb.38:                               ;   in Loop: Header=BB2_15 Depth=1
	ds_load_b32 v0, v52
	ds_load_b32 v1, v51
	s_wait_dscnt 0x0
	ds_store_b64 v47, v[0:1] offset:15888
	ds_store_b32 v47, v1 offset:15360
	ds_store_b32 v47, v0 offset:15976
	ds_store_b32 v52, v47
	ds_store_b32 v51, v47
.LBB2_39:                               ;   in Loop: Header=BB2_15 Depth=1
	s_wait_alu 0xfffe
	s_or_b32 exec_lo, exec_lo, s0
	s_and_saveexec_b32 s0, s14
	s_cbranch_execz .LBB2_41
; %bb.40:                               ;   in Loop: Header=BB2_15 Depth=1
	ds_load_b32 v0, v65
	ds_load_b32 v1, v66
	ds_load_b32 v2, v52
	ds_load_b32 v3, v51
	s_wait_dscnt 0x1
	v_add_nc_u32_e32 v0, v2, v0
	s_wait_dscnt 0x0
	v_add_nc_u32_e32 v1, v3, v1
	ds_store_b32 v65, v2
	ds_store_b32 v66, v3
	ds_store_b32 v52, v0
	ds_store_b32 v51, v1
.LBB2_41:                               ;   in Loop: Header=BB2_15 Depth=1
	s_wait_alu 0xfffe
	s_or_b32 exec_lo, exec_lo, s0
	s_wait_loadcnt_dscnt 0x0
	s_barrier_signal -1
	s_barrier_wait -1
	global_inv scope:SCOPE_SE
	s_and_saveexec_b32 s0, s13
	s_cbranch_execz .LBB2_43
; %bb.42:                               ;   in Loop: Header=BB2_15 Depth=1
	ds_load_b32 v0, v63
	ds_load_b32 v1, v64
	ds_load_b32 v2, v52
	ds_load_b32 v3, v51
	s_wait_dscnt 0x1
	v_add_nc_u32_e32 v0, v2, v0
	s_wait_dscnt 0x0
	v_add_nc_u32_e32 v1, v3, v1
	ds_store_b32 v63, v2
	ds_store_b32 v64, v3
	ds_store_b32 v52, v0
	ds_store_b32 v51, v1
.LBB2_43:                               ;   in Loop: Header=BB2_15 Depth=1
	s_wait_alu 0xfffe
	s_or_b32 exec_lo, exec_lo, s0
	s_wait_loadcnt_dscnt 0x0
	s_barrier_signal -1
	s_barrier_wait -1
	global_inv scope:SCOPE_SE
	s_and_saveexec_b32 s0, s12
	s_cbranch_execz .LBB2_45
; %bb.44:                               ;   in Loop: Header=BB2_15 Depth=1
	ds_load_b32 v0, v61
	ds_load_b32 v1, v62
	ds_load_b32 v2, v52
	ds_load_b32 v3, v51
	s_wait_dscnt 0x1
	v_add_nc_u32_e32 v0, v2, v0
	s_wait_dscnt 0x0
	v_add_nc_u32_e32 v1, v3, v1
	ds_store_b32 v61, v2
	ds_store_b32 v62, v3
	ds_store_b32 v52, v0
	ds_store_b32 v51, v1
.LBB2_45:                               ;   in Loop: Header=BB2_15 Depth=1
	s_wait_alu 0xfffe
	s_or_b32 exec_lo, exec_lo, s0
	s_wait_loadcnt_dscnt 0x0
	s_barrier_signal -1
	s_barrier_wait -1
	global_inv scope:SCOPE_SE
	s_and_saveexec_b32 s0, s11
	s_cbranch_execz .LBB2_47
; %bb.46:                               ;   in Loop: Header=BB2_15 Depth=1
	ds_load_b32 v0, v59
	ds_load_b32 v1, v60
	ds_load_b32 v2, v52
	ds_load_b32 v3, v51
	s_wait_dscnt 0x1
	v_add_nc_u32_e32 v0, v2, v0
	s_wait_dscnt 0x0
	v_add_nc_u32_e32 v1, v3, v1
	ds_store_b32 v59, v2
	ds_store_b32 v60, v3
	ds_store_b32 v52, v0
	ds_store_b32 v51, v1
.LBB2_47:                               ;   in Loop: Header=BB2_15 Depth=1
	s_wait_alu 0xfffe
	s_or_b32 exec_lo, exec_lo, s0
	s_wait_loadcnt_dscnt 0x0
	s_barrier_signal -1
	s_barrier_wait -1
	global_inv scope:SCOPE_SE
	s_and_saveexec_b32 s0, s10
	s_cbranch_execz .LBB2_49
; %bb.48:                               ;   in Loop: Header=BB2_15 Depth=1
	ds_load_b32 v0, v57
	ds_load_b32 v1, v58
	ds_load_b32 v2, v52
	ds_load_b32 v3, v51
	s_wait_dscnt 0x1
	v_add_nc_u32_e32 v0, v2, v0
	s_wait_dscnt 0x0
	v_add_nc_u32_e32 v1, v3, v1
	ds_store_b32 v57, v2
	ds_store_b32 v58, v3
	ds_store_b32 v52, v0
	ds_store_b32 v51, v1
.LBB2_49:                               ;   in Loop: Header=BB2_15 Depth=1
	s_wait_alu 0xfffe
	s_or_b32 exec_lo, exec_lo, s0
	s_wait_loadcnt_dscnt 0x0
	s_barrier_signal -1
	s_barrier_wait -1
	global_inv scope:SCOPE_SE
	s_and_saveexec_b32 s0, s7
	s_cbranch_execz .LBB2_51
; %bb.50:                               ;   in Loop: Header=BB2_15 Depth=1
	ds_load_b32 v0, v55
	ds_load_b32 v1, v56
	ds_load_b32 v2, v52
	ds_load_b32 v3, v51
	s_wait_dscnt 0x1
	v_add_nc_u32_e32 v0, v2, v0
	s_wait_dscnt 0x0
	v_add_nc_u32_e32 v1, v3, v1
	ds_store_b32 v55, v2
	ds_store_b32 v56, v3
	ds_store_b32 v52, v0
	ds_store_b32 v51, v1
.LBB2_51:                               ;   in Loop: Header=BB2_15 Depth=1
	s_wait_alu 0xfffe
	s_or_b32 exec_lo, exec_lo, s0
	s_wait_loadcnt_dscnt 0x0
	s_barrier_signal -1
	s_barrier_wait -1
	global_inv scope:SCOPE_SE
	s_and_saveexec_b32 s0, s6
	s_cbranch_execz .LBB2_53
; %bb.52:                               ;   in Loop: Header=BB2_15 Depth=1
	ds_load_2addr_b32 v[0:1], v53 offset1:1
	ds_load_2addr_b32 v[2:3], v54 offset1:1
	s_wait_dscnt 0x1
	v_add_nc_u32_e32 v0, v1, v0
	s_wait_dscnt 0x0
	v_add_nc_u32_e32 v2, v3, v2
	ds_store_2addr_b32 v53, v1, v0 offset1:1
	ds_store_2addr_b32 v54, v3, v2 offset1:1
.LBB2_53:                               ;   in Loop: Header=BB2_15 Depth=1
	s_wait_alu 0xfffe
	s_or_b32 exec_lo, exec_lo, s0
	s_wait_loadcnt_dscnt 0x0
	s_barrier_signal -1
	s_barrier_wait -1
	global_inv scope:SCOPE_SE
	s_and_saveexec_b32 s0, vcc_lo
	s_cbranch_execz .LBB2_60
; %bb.54:                               ;   in Loop: Header=BB2_15 Depth=1
	ds_load_b32 v4, v51 offset:4
	ds_load_b32 v5, v52
	ds_load_2addr_b64 v[0:3], v68 offset0:129 offset1:195
	v_mov_b32_e32 v46, v9
	s_mov_b32 s1, 0
	s_wait_dscnt 0x2
	v_sub_nc_u32_e32 v4, v41, v4
	s_wait_dscnt 0x1
	v_add_nc_u32_e32 v6, v5, v40
	s_branch .LBB2_56
.LBB2_55:                               ;   in Loop: Header=BB2_56 Depth=2
	s_wait_alu 0xfffe
	s_or_b32 exec_lo, exec_lo, s2
	v_add_nc_u32_e32 v46, 0x80, v46
	s_delay_alu instid0(VALU_DEP_1)
	v_cmp_ge_u32_e32 vcc_lo, v46, v41
	s_or_b32 s1, vcc_lo, s1
	s_wait_alu 0xfffe
	s_and_not1_b32 exec_lo, exec_lo, s1
	s_cbranch_execz .LBB2_60
.LBB2_56:                               ;   Parent Loop BB2_15 Depth=1
                                        ; =>  This Inner Loop Header: Depth=2
	v_lshlrev_b64_e32 v[10:11], 2, v[46:47]
	s_mov_b32 s2, exec_lo
	s_wait_dscnt 0x0
	s_delay_alu instid0(VALU_DEP_1) | instskip(SKIP_1) | instid1(VALU_DEP_2)
	v_add_co_u32 v10, vcc_lo, v0, v10
	s_wait_alu 0xfffd
	v_add_co_ci_u32_e64 v11, null, v1, v11, vcc_lo
	flat_load_b32 v10, v[10:11]
	s_wait_loadcnt_dscnt 0x0
	v_cmpx_lt_u32_e64 v10, v8
	s_cbranch_execz .LBB2_58
; %bb.57:                               ;   in Loop: Header=BB2_56 Depth=2
	v_mov_b32_e32 v7, v47
	s_delay_alu instid0(VALU_DEP_1) | instskip(SKIP_1) | instid1(VALU_DEP_2)
	v_lshlrev_b64_e32 v[11:12], 2, v[6:7]
	v_add_nc_u32_e32 v6, 1, v6
	v_add_co_u32 v11, vcc_lo, v2, v11
	s_wait_alu 0xfffd
	s_delay_alu instid0(VALU_DEP_3)
	v_add_co_ci_u32_e64 v12, null, v3, v12, vcc_lo
	flat_store_b32 v[11:12], v10
.LBB2_58:                               ;   in Loop: Header=BB2_56 Depth=2
	s_wait_alu 0xfffe
	s_or_b32 exec_lo, exec_lo, s2
	s_delay_alu instid0(SALU_CYCLE_1)
	s_mov_b32 s2, exec_lo
	v_cmpx_gt_u32_e64 v10, v8
	s_cbranch_execz .LBB2_55
; %bb.59:                               ;   in Loop: Header=BB2_56 Depth=2
	v_mov_b32_e32 v5, v47
	s_delay_alu instid0(VALU_DEP_1) | instskip(SKIP_1) | instid1(VALU_DEP_2)
	v_lshlrev_b64_e32 v[11:12], 2, v[4:5]
	v_add_nc_u32_e32 v4, 1, v4
	v_add_co_u32 v11, vcc_lo, v2, v11
	s_wait_alu 0xfffd
	s_delay_alu instid0(VALU_DEP_3)
	v_add_co_ci_u32_e64 v12, null, v3, v12, vcc_lo
	flat_store_b32 v[11:12], v10
	s_branch .LBB2_55
.LBB2_60:                               ;   in Loop: Header=BB2_15 Depth=1
	s_wait_alu 0xfffe
	s_or_b32 exec_lo, exec_lo, s0
	s_wait_storecnt 0x0
	s_wait_loadcnt_dscnt 0x0
	s_barrier_signal -1
	s_barrier_wait -1
	global_inv scope:SCOPE_SE
	ds_load_2addr_b32 v[1:2], v67 offset0:133 offset1:154
	s_mov_b32 s1, exec_lo
	s_wait_dscnt 0x0
	v_add_nc_u32_e32 v0, v9, v2
	v_sub_nc_u32_e32 v1, v41, v1
	s_delay_alu instid0(VALU_DEP_1)
	v_cmpx_lt_u32_e64 v0, v1
	s_cbranch_execz .LBB2_63
; %bb.61:                               ;   in Loop: Header=BB2_15 Depth=1
	s_mov_b32 s2, 0
.LBB2_62:                               ;   Parent Loop BB2_15 Depth=1
                                        ; =>  This Inner Loop Header: Depth=2
	v_add_nc_u32_e32 v46, v45, v0
	v_add_nc_u32_e32 v0, 0x80, v0
	s_delay_alu instid0(VALU_DEP_2) | instskip(NEXT) | instid1(VALU_DEP_2)
	v_lshlrev_b64_e32 v[2:3], 2, v[46:47]
	v_cmp_ge_u32_e32 vcc_lo, v0, v1
	s_wait_alu 0xfffe
	s_or_b32 s2, vcc_lo, s2
	s_delay_alu instid0(VALU_DEP_2)
	v_add_co_u32 v2, s0, s16, v2
	s_wait_alu 0xf1ff
	v_add_co_ci_u32_e64 v3, null, s17, v3, s0
	global_store_b32 v[2:3], v8, off
	s_wait_alu 0xfffe
	s_and_not1_b32 exec_lo, exec_lo, s2
	s_cbranch_execnz .LBB2_62
.LBB2_63:                               ;   in Loop: Header=BB2_15 Depth=1
	s_wait_alu 0xfffe
	s_or_b32 exec_lo, exec_lo, s1
	s_wait_loadcnt 0x0
	s_wait_storecnt 0x0
	s_barrier_signal -1
	s_barrier_wait -1
	global_inv scope:SCOPE_SE
	ds_load_b32 v2, v47 offset:15976
	s_mov_b32 s0, -1
	s_wait_dscnt 0x0
	v_cmp_lt_u32_e32 vcc_lo, 0x100, v2
	s_cbranch_vccz .LBB2_67
; %bb.64:                               ;   in Loop: Header=BB2_15 Depth=1
	s_and_saveexec_b32 s0, s5
	s_cbranch_execz .LBB2_66
; %bb.65:                               ;   in Loop: Header=BB2_15 Depth=1
	ds_load_b32 v0, v47 offset:15364
	v_add_nc_u32_e32 v3, v2, v40
	v_xor_b32_e32 v5, 1, v69
	s_wait_dscnt 0x0
	v_mul_lo_u32 v1, v0, 12
	v_add_nc_u32_e32 v0, 1, v0
	s_delay_alu instid0(VALU_DEP_2)
	v_add_nc_u32_e32 v4, 0x3e2c, v1
	ds_store_b32 v47, v0 offset:15364
	ds_store_2addr_b32 v4, v40, v3 offset1:1
	ds_store_b32 v1, v5 offset:15924
.LBB2_66:                               ;   in Loop: Header=BB2_15 Depth=1
	s_wait_alu 0xfffe
	s_or_b32 exec_lo, exec_lo, s0
	s_mov_b32 s0, 0
	s_wait_loadcnt_dscnt 0x0
	s_barrier_signal -1
	s_barrier_wait -1
	global_inv scope:SCOPE_SE
.LBB2_67:                               ;   in Loop: Header=BB2_15 Depth=1
	s_wait_alu 0xfffe
	s_and_b32 vcc_lo, exec_lo, s0
	s_wait_alu 0xfffe
	s_cbranch_vccz .LBB2_69
; %bb.68:                               ;   in Loop: Header=BB2_15 Depth=1
	ds_load_b64 v[0:1], v47 offset:15896
	v_dual_mov_b32 v2, v43 :: v_dual_add_nc_u32 v5, v2, v40
	v_dual_mov_b32 v3, v44 :: v_dual_mov_b32 v4, v40
	v_mov_b32_e32 v6, v42
	s_getpc_b64 s[0:1]
	s_wait_alu 0xfffe
	s_sext_i32_i16 s1, s1
	s_add_co_u32 s0, s0, _Z14sort_thresholdIjEvPT_S1_jjS1_j@rel32@lo+12
	s_wait_alu 0xfffe
	s_add_co_ci_u32 s1, s1, _Z14sort_thresholdIjEvPT_S1_jjS1_j@rel32@hi+24
	s_wait_alu 0xfffe
	s_swappc_b64 s[30:31], s[0:1]
.LBB2_69:                               ;   in Loop: Header=BB2_15 Depth=1
	ds_load_b32 v2, v47 offset:15892
	s_mov_b32 s0, -1
	s_wait_dscnt 0x0
	v_cmp_lt_u32_e32 vcc_lo, 0x100, v2
	s_cbranch_vccnz .LBB2_71
; %bb.70:                               ;   in Loop: Header=BB2_15 Depth=1
	s_wait_alu 0xfffe
	s_and_b32 vcc_lo, exec_lo, s0
	s_wait_alu 0xfffe
	s_cbranch_vccz .LBB2_14
	s_branch .LBB2_74
.LBB2_71:                               ;   in Loop: Header=BB2_15 Depth=1
	s_and_saveexec_b32 s0, s5
	s_cbranch_execz .LBB2_73
; %bb.72:                               ;   in Loop: Header=BB2_15 Depth=1
	ds_load_b32 v0, v47 offset:15364
	v_sub_nc_u32_e32 v3, v41, v2
	v_xor_b32_e32 v5, 1, v69
	s_wait_dscnt 0x0
	v_mul_lo_u32 v1, v0, 12
	v_add_nc_u32_e32 v0, 1, v0
	s_delay_alu instid0(VALU_DEP_2)
	v_add_nc_u32_e32 v4, 0x3e2c, v1
	ds_store_b32 v47, v0 offset:15364
	ds_store_2addr_b32 v4, v3, v41 offset1:1
	ds_store_b32 v1, v5 offset:15924
.LBB2_73:                               ;   in Loop: Header=BB2_15 Depth=1
	s_wait_alu 0xfffe
	s_or_b32 exec_lo, exec_lo, s0
	s_wait_storecnt 0x0
	s_wait_loadcnt_dscnt 0x0
	s_barrier_signal -1
	s_barrier_wait -1
	global_inv scope:SCOPE_SE
	s_branch .LBB2_14
.LBB2_74:                               ;   in Loop: Header=BB2_15 Depth=1
	ds_load_b64 v[0:1], v47 offset:15896
	v_sub_nc_u32_e32 v4, v41, v2
	v_dual_mov_b32 v2, v43 :: v_dual_mov_b32 v3, v44
	v_dual_mov_b32 v5, v41 :: v_dual_mov_b32 v6, v42
	s_getpc_b64 s[0:1]
	s_wait_alu 0xfffe
	s_sext_i32_i16 s1, s1
	s_add_co_u32 s0, s0, _Z14sort_thresholdIjEvPT_S1_jjS1_j@rel32@lo+12
	s_wait_alu 0xfffe
	s_add_co_ci_u32 s1, s1, _Z14sort_thresholdIjEvPT_S1_jjS1_j@rel32@hi+24
	s_wait_alu 0xfffe
	s_swappc_b64 s[30:31], s[0:1]
	s_branch .LBB2_14
.LBB2_75:
	s_endpgm
	.section	.rodata,"a",@progbits
	.p2align	6, 0x0
	.amdhsa_kernel _Z13lqsort_kernelIjEvPT_S1_P11work_recordIS0_E
		.amdhsa_group_segment_fixed_size 15984
		.amdhsa_private_segment_fixed_size 0
		.amdhsa_kernarg_size 280
		.amdhsa_user_sgpr_count 2
		.amdhsa_user_sgpr_dispatch_ptr 0
		.amdhsa_user_sgpr_queue_ptr 0
		.amdhsa_user_sgpr_kernarg_segment_ptr 1
		.amdhsa_user_sgpr_dispatch_id 0
		.amdhsa_user_sgpr_private_segment_size 0
		.amdhsa_wavefront_size32 1
		.amdhsa_uses_dynamic_stack 0
		.amdhsa_enable_private_segment 0
		.amdhsa_system_sgpr_workgroup_id_x 1
		.amdhsa_system_sgpr_workgroup_id_y 0
		.amdhsa_system_sgpr_workgroup_id_z 0
		.amdhsa_system_sgpr_workgroup_info 0
		.amdhsa_system_vgpr_workitem_id 0
		.amdhsa_next_free_vgpr 70
		.amdhsa_next_free_sgpr 33
		.amdhsa_reserve_vcc 1
		.amdhsa_float_round_mode_32 0
		.amdhsa_float_round_mode_16_64 0
		.amdhsa_float_denorm_mode_32 3
		.amdhsa_float_denorm_mode_16_64 3
		.amdhsa_fp16_overflow 0
		.amdhsa_workgroup_processor_mode 1
		.amdhsa_memory_ordered 1
		.amdhsa_forward_progress 1
		.amdhsa_inst_pref_size 31
		.amdhsa_round_robin_scheduling 0
		.amdhsa_exception_fp_ieee_invalid_op 0
		.amdhsa_exception_fp_denorm_src 0
		.amdhsa_exception_fp_ieee_div_zero 0
		.amdhsa_exception_fp_ieee_overflow 0
		.amdhsa_exception_fp_ieee_underflow 0
		.amdhsa_exception_fp_ieee_inexact 0
		.amdhsa_exception_int_div_zero 0
	.end_amdhsa_kernel
	.section	.text._Z13lqsort_kernelIjEvPT_S1_P11work_recordIS0_E,"axG",@progbits,_Z13lqsort_kernelIjEvPT_S1_P11work_recordIS0_E,comdat
.Lfunc_end2:
	.size	_Z13lqsort_kernelIjEvPT_S1_P11work_recordIS0_E, .Lfunc_end2-_Z13lqsort_kernelIjEvPT_S1_P11work_recordIS0_E
                                        ; -- End function
	.set _Z13lqsort_kernelIjEvPT_S1_P11work_recordIS0_E.num_vgpr, max(70, .L_Z14sort_thresholdIjEvPT_S1_jjS1_j.num_vgpr)
	.set _Z13lqsort_kernelIjEvPT_S1_P11work_recordIS0_E.num_agpr, max(0, .L_Z14sort_thresholdIjEvPT_S1_jjS1_j.num_agpr)
	.set _Z13lqsort_kernelIjEvPT_S1_P11work_recordIS0_E.numbered_sgpr, max(33, .L_Z14sort_thresholdIjEvPT_S1_jjS1_j.numbered_sgpr)
	.set _Z13lqsort_kernelIjEvPT_S1_P11work_recordIS0_E.num_named_barrier, max(0, .L_Z14sort_thresholdIjEvPT_S1_jjS1_j.num_named_barrier)
	.set _Z13lqsort_kernelIjEvPT_S1_P11work_recordIS0_E.private_seg_size, 0+max(.L_Z14sort_thresholdIjEvPT_S1_jjS1_j.private_seg_size)
	.set _Z13lqsort_kernelIjEvPT_S1_P11work_recordIS0_E.uses_vcc, or(1, .L_Z14sort_thresholdIjEvPT_S1_jjS1_j.uses_vcc)
	.set _Z13lqsort_kernelIjEvPT_S1_P11work_recordIS0_E.uses_flat_scratch, or(1, .L_Z14sort_thresholdIjEvPT_S1_jjS1_j.uses_flat_scratch)
	.set _Z13lqsort_kernelIjEvPT_S1_P11work_recordIS0_E.has_dyn_sized_stack, or(0, .L_Z14sort_thresholdIjEvPT_S1_jjS1_j.has_dyn_sized_stack)
	.set _Z13lqsort_kernelIjEvPT_S1_P11work_recordIS0_E.has_recursion, or(0, .L_Z14sort_thresholdIjEvPT_S1_jjS1_j.has_recursion)
	.set _Z13lqsort_kernelIjEvPT_S1_P11work_recordIS0_E.has_indirect_call, or(0, .L_Z14sort_thresholdIjEvPT_S1_jjS1_j.has_indirect_call)
	.section	.AMDGPU.csdata,"",@progbits
; Kernel info:
; codeLenInByte = 3948
; TotalNumSgprs: 35
; NumVgprs: 70
; ScratchSize: 0
; MemoryBound: 0
; FloatMode: 240
; IeeeMode: 1
; LDSByteSize: 15984 bytes/workgroup (compile time only)
; SGPRBlocks: 0
; VGPRBlocks: 8
; NumSGPRsForWavesPerEU: 35
; NumVGPRsForWavesPerEU: 70
; Occupancy: 16
; WaveLimiterHint : 1
; COMPUTE_PGM_RSRC2:SCRATCH_EN: 0
; COMPUTE_PGM_RSRC2:USER_SGPR: 2
; COMPUTE_PGM_RSRC2:TRAP_HANDLER: 0
; COMPUTE_PGM_RSRC2:TGID_X_EN: 1
; COMPUTE_PGM_RSRC2:TGID_Y_EN: 0
; COMPUTE_PGM_RSRC2:TGID_Z_EN: 0
; COMPUTE_PGM_RSRC2:TIDIG_COMP_CNT: 0
	.section	.text._Z13gqsort_kernelIfEvPT_S1_P12block_recordIS0_EP13parent_recordP11work_recordIS0_E,"axG",@progbits,_Z13gqsort_kernelIfEvPT_S1_P12block_recordIS0_EP13parent_recordP11work_recordIS0_E,comdat
	.protected	_Z13gqsort_kernelIfEvPT_S1_P12block_recordIS0_EP13parent_recordP11work_recordIS0_E ; -- Begin function _Z13gqsort_kernelIfEvPT_S1_P12block_recordIS0_EP13parent_recordP11work_recordIS0_E
	.globl	_Z13gqsort_kernelIfEvPT_S1_P12block_recordIS0_EP13parent_recordP11work_recordIS0_E
	.p2align	8
	.type	_Z13gqsort_kernelIfEvPT_S1_P12block_recordIS0_EP13parent_recordP11work_recordIS0_E,@function
_Z13gqsort_kernelIfEvPT_S1_P12block_recordIS0_EP13parent_recordP11work_recordIS0_E: ; @_Z13gqsort_kernelIfEvPT_S1_P12block_recordIS0_EP13parent_recordP11work_recordIS0_E
; %bb.0:
	s_load_b256 s[8:15], s[0:1], 0x0
	s_mov_b32 s2, ttmp9
	s_mov_b32 s3, 0
	v_dual_mov_b32 v5, 0 :: v_dual_lshlrev_b32 v4, 2, v0
	s_mul_u64 s[4:5], s[2:3], 20
	v_mov_b32_e32 v6, 0
	s_wait_kmcnt 0x0
	s_add_nc_u64 s[4:5], s[12:13], s[4:5]
	s_load_b128 s[16:19], s[4:5], 0x0
	s_load_b64 s[12:13], s[0:1], 0x20
	s_load_b32 s20, s[4:5], 0x10
	ds_store_2addr_b32 v4, v5, v5 offset1:132
	s_wait_dscnt 0x0
	s_barrier_signal -1
	s_barrier_wait -1
	global_inv scope:SCOPE_SE
	s_wait_kmcnt 0x0
	v_add_nc_u32_e32 v1, s16, v0
	s_cmp_eq_u32 s19, 1
	s_cselect_b32 s29, -1, 0
	s_delay_alu instid0(SALU_CYCLE_1) | instskip(NEXT) | instid1(VALU_DEP_1)
	s_and_b32 s0, s29, exec_lo
	v_cmp_gt_u32_e32 vcc_lo, s17, v1
	s_cselect_b32 s16, s9, s11
	s_cselect_b32 s28, s8, s10
	s_and_saveexec_b32 s2, vcc_lo
	s_cbranch_execz .LBB3_4
; %bb.1:
	v_dual_mov_b32 v3, 0 :: v_dual_mov_b32 v6, 0
	s_delay_alu instid0(VALU_DEP_1)
	v_dual_mov_b32 v2, v1 :: v_dual_mov_b32 v5, v3
.LBB3_2:                                ; =>This Inner Loop Header: Depth=1
	s_delay_alu instid0(VALU_DEP_1) | instskip(SKIP_1) | instid1(VALU_DEP_2)
	v_lshlrev_b64_e32 v[7:8], 2, v[2:3]
	v_add_nc_u32_e32 v2, 0x80, v2
	v_add_co_u32 v7, s0, s28, v7
	s_wait_alu 0xf1fe
	s_delay_alu instid0(VALU_DEP_3) | instskip(NEXT) | instid1(VALU_DEP_3)
	v_add_co_ci_u32_e64 v8, null, s16, v8, s0
	v_cmp_le_u32_e64 s0, s17, v2
	global_load_b32 v7, v[7:8], off
	s_or_b32 s3, s0, s3
	s_wait_loadcnt 0x0
	v_cvt_u32_f32_e32 v7, v7
	s_delay_alu instid0(VALU_DEP_1) | instskip(NEXT) | instid1(VALU_DEP_1)
	v_cvt_f32_u32_e32 v7, v7
	v_cmp_gt_f32_e64 s1, s18, v7
	s_wait_alu 0xf1ff
	s_delay_alu instid0(VALU_DEP_1) | instskip(SKIP_2) | instid1(VALU_DEP_1)
	v_add_co_ci_u32_e64 v5, null, 0, v5, s1
	v_cmp_lt_f32_e64 s1, s18, v7
	s_wait_alu 0xf1ff
	v_add_co_ci_u32_e64 v6, null, 0, v6, s1
	s_and_not1_b32 exec_lo, exec_lo, s3
	s_cbranch_execnz .LBB3_2
; %bb.3:
	s_or_b32 exec_lo, exec_lo, s3
.LBB3_4:
	s_delay_alu instid0(SALU_CYCLE_1)
	s_or_b32 exec_lo, exec_lo, s2
	v_add_nc_u32_e32 v3, 0x210, v4
	v_and_b32_e32 v7, 1, v0
	ds_store_b32 v3, v5
	ds_store_b32 v4, v6
	v_add_nc_u32_e32 v2, -4, v3
	v_cmp_eq_u32_e64 s0, 1, v7
	v_add_nc_u32_e32 v5, -4, v4
	s_wait_loadcnt_dscnt 0x0
	s_barrier_signal -1
	s_barrier_wait -1
	global_inv scope:SCOPE_SE
	s_and_saveexec_b32 s1, s0
	s_cbranch_execz .LBB3_6
; %bb.5:
	ds_load_2addr_b32 v[6:7], v2 offset1:1
	ds_load_2addr_b32 v[8:9], v5 offset1:1
	s_wait_dscnt 0x1
	v_add_nc_u32_e32 v6, v7, v6
	s_wait_dscnt 0x0
	v_add_nc_u32_e32 v7, v9, v8
	ds_store_b32 v3, v6
	ds_store_b32 v4, v7
.LBB3_6:
	s_wait_alu 0xfffe
	s_or_b32 exec_lo, exec_lo, s1
	v_and_b32_e32 v7, 3, v0
	v_add_nc_u32_e32 v6, -8, v3
	s_wait_loadcnt_dscnt 0x0
	s_barrier_signal -1
	s_barrier_wait -1
	v_cmp_eq_u32_e64 s1, 3, v7
	v_add_nc_u32_e32 v7, -8, v4
	global_inv scope:SCOPE_SE
	s_and_saveexec_b32 s2, s1
	s_cbranch_execz .LBB3_8
; %bb.7:
	ds_load_b32 v8, v6
	ds_load_b32 v9, v7
	;; [unrolled: 1-line block ×4, first 2 shown]
	s_wait_dscnt 0x1
	v_add_nc_u32_e32 v8, v10, v8
	s_wait_dscnt 0x0
	v_add_nc_u32_e32 v9, v11, v9
	ds_store_b32 v3, v8
	ds_store_b32 v4, v9
.LBB3_8:
	s_or_b32 exec_lo, exec_lo, s2
	v_and_b32_e32 v9, 7, v0
	v_add_nc_u32_e32 v8, -16, v3
	s_wait_loadcnt_dscnt 0x0
	s_barrier_signal -1
	s_barrier_wait -1
	v_cmp_eq_u32_e64 s2, 7, v9
	v_add_nc_u32_e32 v9, -16, v4
	global_inv scope:SCOPE_SE
	s_and_saveexec_b32 s3, s2
	s_cbranch_execz .LBB3_10
; %bb.9:
	ds_load_b32 v10, v8
	ds_load_b32 v11, v9
	;; [unrolled: 1-line block ×4, first 2 shown]
	s_wait_dscnt 0x1
	v_add_nc_u32_e32 v10, v12, v10
	s_wait_dscnt 0x0
	v_add_nc_u32_e32 v11, v13, v11
	ds_store_b32 v3, v10
	ds_store_b32 v4, v11
.LBB3_10:
	s_or_b32 exec_lo, exec_lo, s3
	v_and_b32_e32 v11, 15, v0
	v_subrev_nc_u32_e32 v10, 32, v3
	s_wait_loadcnt_dscnt 0x0
	s_barrier_signal -1
	s_barrier_wait -1
	v_cmp_eq_u32_e64 s3, 15, v11
	v_subrev_nc_u32_e32 v11, 32, v4
	global_inv scope:SCOPE_SE
	s_and_saveexec_b32 s4, s3
	s_cbranch_execz .LBB3_12
; %bb.11:
	ds_load_b32 v12, v10
	ds_load_b32 v13, v11
	;; [unrolled: 1-line block ×4, first 2 shown]
	s_wait_dscnt 0x1
	v_add_nc_u32_e32 v12, v14, v12
	s_wait_dscnt 0x0
	v_add_nc_u32_e32 v13, v15, v13
	ds_store_b32 v3, v12
	ds_store_b32 v4, v13
.LBB3_12:
	s_or_b32 exec_lo, exec_lo, s4
	v_and_b32_e32 v13, 31, v0
	v_subrev_nc_u32_e32 v12, 64, v3
	s_wait_loadcnt_dscnt 0x0
	s_barrier_signal -1
	s_barrier_wait -1
	v_cmp_eq_u32_e64 s4, 31, v13
	v_subrev_nc_u32_e32 v13, 64, v4
	global_inv scope:SCOPE_SE
	s_and_saveexec_b32 s5, s4
	s_cbranch_execz .LBB3_14
; %bb.13:
	ds_load_b32 v14, v12
	ds_load_b32 v15, v13
	;; [unrolled: 1-line block ×4, first 2 shown]
	s_wait_dscnt 0x1
	v_add_nc_u32_e32 v14, v16, v14
	s_wait_dscnt 0x0
	v_add_nc_u32_e32 v15, v17, v15
	ds_store_b32 v3, v14
	ds_store_b32 v4, v15
.LBB3_14:
	s_or_b32 exec_lo, exec_lo, s5
	v_and_b32_e32 v15, 63, v0
	v_add_nc_u32_e32 v14, 0xffffff80, v3
	s_wait_loadcnt_dscnt 0x0
	s_barrier_signal -1
	s_barrier_wait -1
	v_cmp_eq_u32_e64 s5, 63, v15
	v_add_nc_u32_e32 v15, 0xffffff80, v4
	global_inv scope:SCOPE_SE
	s_and_saveexec_b32 s6, s5
	s_cbranch_execz .LBB3_16
; %bb.15:
	ds_load_b32 v16, v14
	ds_load_b32 v17, v15
	;; [unrolled: 1-line block ×4, first 2 shown]
	s_wait_dscnt 0x1
	v_add_nc_u32_e32 v16, v18, v16
	s_wait_dscnt 0x0
	v_add_nc_u32_e32 v17, v19, v17
	ds_store_b32 v3, v16
	ds_store_b32 v4, v17
.LBB3_16:
	s_or_b32 exec_lo, exec_lo, s6
	v_and_b32_e32 v17, 0x7f, v0
	v_add_nc_u32_e32 v16, 0xffffff00, v3
	s_wait_loadcnt_dscnt 0x0
	s_barrier_signal -1
	s_barrier_wait -1
	v_cmp_eq_u32_e64 s6, 0x7f, v17
	v_add_nc_u32_e32 v17, 0xffffff00, v4
	global_inv scope:SCOPE_SE
	s_and_saveexec_b32 s7, s6
	s_cbranch_execz .LBB3_18
; %bb.17:
	ds_load_b32 v18, v16
	ds_load_b32 v19, v17
	;; [unrolled: 1-line block ×4, first 2 shown]
	s_wait_dscnt 0x1
	v_add_nc_u32_e32 v18, v20, v18
	s_wait_dscnt 0x0
	v_add_nc_u32_e32 v19, v21, v19
	ds_store_b32 v3, v18
	ds_store_b32 v4, v19
.LBB3_18:
	s_or_b32 exec_lo, exec_lo, s7
	s_wait_loadcnt_dscnt 0x0
	s_barrier_signal -1
	s_barrier_wait -1
	global_inv scope:SCOPE_SE
	s_and_saveexec_b32 s7, s6
	s_cbranch_execz .LBB3_20
; %bb.19:
	ds_load_b32 v18, v3
	ds_load_b32 v20, v4
	v_mov_b32_e32 v21, 0
	s_wait_dscnt 0x1
	v_mov_b32_e32 v19, v18
	s_wait_dscnt 0x0
	ds_store_2addr_b32 v21, v20, v20 offset0:128 offset1:131
	ds_store_b64 v21, v[18:19] offset:1040
	ds_store_b32 v3, v21
	ds_store_b32 v4, v21
.LBB3_20:
	s_or_b32 exec_lo, exec_lo, s7
	s_and_saveexec_b32 s7, s6
	s_cbranch_execz .LBB3_22
; %bb.21:
	ds_load_b32 v18, v16
	ds_load_b32 v19, v17
	ds_load_b32 v20, v3
	ds_load_b32 v21, v4
	s_wait_dscnt 0x1
	v_add_nc_u32_e32 v18, v20, v18
	s_wait_dscnt 0x0
	v_add_nc_u32_e32 v19, v21, v19
	ds_store_b32 v16, v20
	ds_store_b32 v17, v21
	ds_store_b32 v3, v18
	ds_store_b32 v4, v19
.LBB3_22:
	s_or_b32 exec_lo, exec_lo, s7
	s_wait_loadcnt_dscnt 0x0
	s_barrier_signal -1
	s_barrier_wait -1
	global_inv scope:SCOPE_SE
	s_and_saveexec_b32 s6, s5
	s_cbranch_execz .LBB3_24
; %bb.23:
	ds_load_b32 v16, v14
	ds_load_b32 v17, v15
	ds_load_b32 v18, v3
	ds_load_b32 v19, v4
	s_wait_dscnt 0x1
	v_add_nc_u32_e32 v16, v18, v16
	s_wait_dscnt 0x0
	v_add_nc_u32_e32 v17, v19, v17
	ds_store_b32 v14, v18
	ds_store_b32 v15, v19
	ds_store_b32 v3, v16
	ds_store_b32 v4, v17
.LBB3_24:
	s_or_b32 exec_lo, exec_lo, s6
	s_wait_loadcnt_dscnt 0x0
	s_barrier_signal -1
	s_barrier_wait -1
	global_inv scope:SCOPE_SE
	;; [unrolled: 21-line block ×6, first 2 shown]
	s_and_saveexec_b32 s1, s0
	s_cbranch_execz .LBB3_34
; %bb.33:
	ds_load_2addr_b32 v[6:7], v2 offset1:1
	ds_load_2addr_b32 v[8:9], v5 offset1:1
	s_wait_dscnt 0x1
	v_add_nc_u32_e32 v6, v7, v6
	s_wait_dscnt 0x0
	v_add_nc_u32_e32 v8, v9, v8
	ds_store_2addr_b32 v2, v7, v6 offset1:1
	ds_store_2addr_b32 v5, v9, v8 offset1:1
.LBB3_34:
	s_wait_alu 0xfffe
	s_or_b32 exec_lo, exec_lo, s1
	v_cmp_eq_u32_e64 s0, 0, v0
	s_mov_b32 s21, 0
	s_wait_loadcnt_dscnt 0x0
	s_barrier_signal -1
	s_barrier_wait -1
	global_inv scope:SCOPE_SE
                                        ; implicit-def: $sgpr26_sgpr27
                                        ; implicit-def: $sgpr22_sgpr23
                                        ; implicit-def: $sgpr24_sgpr25
                                        ; implicit-def: $sgpr6_sgpr7
                                        ; implicit-def: $sgpr4_sgpr5
	s_and_saveexec_b32 s2, s0
	s_cbranch_execz .LBB3_40
; %bb.35:
	v_mov_b32_e32 v0, 0
	s_mov_b32 s3, exec_lo
	s_mul_u64 s[4:5], s[20:21], 20
	v_mbcnt_lo_u32_b32 v6, s3, 0
	s_add_nc_u64 s[4:5], s[14:15], s[4:5]
	ds_load_b32 v2, v0 offset:1044
	s_mov_b32 s6, exec_lo
                                        ; implicit-def: $vgpr7
	v_cmpx_eq_u32_e32 0, v6
	s_cbranch_execz .LBB3_37
; %bb.36:
	s_bcnt1_i32_b32 s1, s3
	s_wait_dscnt 0x0
	s_wait_alu 0xfffe
	v_mul_lo_u32 v5, v2, s1
	global_atomic_add_u32 v7, v0, v5, s[4:5] th:TH_ATOMIC_RETURN scope:SCOPE_DEV
.LBB3_37:
	s_or_b32 exec_lo, exec_lo, s6
	ds_load_b32 v5, v0 offset:524
	s_wait_loadcnt 0x0
	v_readfirstlane_b32 s6, v7
	s_mov_b32 s3, exec_lo
	s_mov_b32 s14, exec_lo
	s_wait_alu 0xfffe
	v_mbcnt_lo_u32_b32 v7, s3, 0
	s_wait_dscnt 0x1
	v_mad_co_u64_u32 v[8:9], null, v2, v6, s[6:7]
	s_add_nc_u64 s[6:7], s[4:5], 4
	ds_store_b32 v0, v8 offset:520
                                        ; implicit-def: $vgpr0
	s_wait_dscnt 0x1
	v_sub_nc_u32_e32 v2, 0, v5
	v_cmpx_eq_u32_e32 0, v7
	s_cbranch_execz .LBB3_39
; %bb.38:
	s_bcnt1_i32_b32 s1, s3
	v_mov_b32_e32 v6, 0
	s_wait_alu 0xfffe
	v_mul_lo_u32 v0, v2, s1
	global_atomic_add_u32 v0, v6, v0, s[6:7] th:TH_ATOMIC_RETURN scope:SCOPE_DEV
.LBB3_39:
	s_or_b32 exec_lo, exec_lo, s14
	s_wait_loadcnt 0x0
	v_readfirstlane_b32 s14, v0
	s_add_nc_u64 s[24:25], s[4:5], 8
	s_add_nc_u64 s[22:23], s[4:5], 12
	s_add_nc_u64 s[26:27], s[4:5], 16
	v_mad_co_u64_u32 v[6:7], null, v2, v7, s[14:15]
	v_mov_b32_e32 v2, 0
	s_delay_alu instid0(VALU_DEP_2)
	v_sub_nc_u32_e32 v0, v6, v5
	ds_store_b32 v2, v0 offset:516
.LBB3_40:
	s_or_b32 exec_lo, exec_lo, s2
	s_delay_alu instid0(SALU_CYCLE_1)
	s_and_b32 s1, s29, exec_lo
	s_cselect_b32 s3, s11, s9
	s_cselect_b32 s2, s10, s8
	s_wait_loadcnt_dscnt 0x0
	s_barrier_signal -1
	s_barrier_wait -1
	global_inv scope:SCOPE_SE
	s_and_saveexec_b32 s1, vcc_lo
	s_cbranch_execz .LBB3_47
; %bb.41:
	v_mov_b32_e32 v2, 0
	s_mov_b32 s10, 0
	ds_load_b32 v0, v4
	ds_load_2addr_b32 v[4:5], v2 offset0:129 offset1:130
	ds_load_b32 v6, v3
	s_wait_dscnt 0x1
	v_add_nc_u32_e32 v3, v0, v4
	s_wait_dscnt 0x0
	v_add_nc_u32_e32 v5, v6, v5
	s_branch .LBB3_43
.LBB3_42:                               ;   in Loop: Header=BB3_43 Depth=1
	s_or_b32 exec_lo, exec_lo, s11
	v_add_nc_u32_e32 v1, 0x80, v1
	s_delay_alu instid0(VALU_DEP_1) | instskip(SKIP_1) | instid1(SALU_CYCLE_1)
	v_cmp_le_u32_e32 vcc_lo, s17, v1
	s_or_b32 s10, vcc_lo, s10
	s_and_not1_b32 exec_lo, exec_lo, s10
	s_cbranch_execz .LBB3_47
.LBB3_43:                               ; =>This Inner Loop Header: Depth=1
	v_lshlrev_b64_e32 v[6:7], 2, v[1:2]
	s_mov_b32 s11, exec_lo
	s_delay_alu instid0(VALU_DEP_1) | instskip(SKIP_1) | instid1(VALU_DEP_2)
	v_add_co_u32 v6, vcc_lo, s28, v6
	s_wait_alu 0xfffd
	v_add_co_ci_u32_e64 v7, null, s16, v7, vcc_lo
	global_load_b32 v0, v[6:7], off
	s_wait_loadcnt 0x0
	v_cvt_u32_f32_e32 v0, v0
	s_delay_alu instid0(VALU_DEP_1) | instskip(NEXT) | instid1(VALU_DEP_1)
	v_cvt_f32_u32_e32 v0, v0
	v_cmpx_gt_f32_e32 s18, v0
	s_cbranch_execz .LBB3_45
; %bb.44:                               ;   in Loop: Header=BB3_43 Depth=1
	v_mov_b32_e32 v6, v2
	s_delay_alu instid0(VALU_DEP_1) | instskip(SKIP_2) | instid1(VALU_DEP_2)
	v_lshlrev_b64_e32 v[6:7], 2, v[5:6]
	v_add_nc_u32_e32 v5, 1, v5
	s_wait_alu 0xfffe
	v_add_co_u32 v6, vcc_lo, s2, v6
	s_wait_alu 0xfffd
	s_delay_alu instid0(VALU_DEP_3)
	v_add_co_ci_u32_e64 v7, null, s3, v7, vcc_lo
	global_store_b32 v[6:7], v0, off
.LBB3_45:                               ;   in Loop: Header=BB3_43 Depth=1
	s_or_b32 exec_lo, exec_lo, s11
	s_delay_alu instid0(SALU_CYCLE_1)
	s_mov_b32 s11, exec_lo
	v_cmpx_lt_f32_e32 s18, v0
	s_cbranch_execz .LBB3_42
; %bb.46:                               ;   in Loop: Header=BB3_43 Depth=1
	v_mov_b32_e32 v4, v2
	s_delay_alu instid0(VALU_DEP_1) | instskip(SKIP_2) | instid1(VALU_DEP_2)
	v_lshlrev_b64_e32 v[6:7], 2, v[3:4]
	v_add_nc_u32_e32 v3, 1, v3
	s_wait_alu 0xfffe
	v_add_co_u32 v6, vcc_lo, s2, v6
	s_wait_alu 0xfffd
	s_delay_alu instid0(VALU_DEP_3)
	v_add_co_ci_u32_e64 v7, null, s3, v7, vcc_lo
	global_store_b32 v[6:7], v0, off
	s_branch .LBB3_42
.LBB3_47:
	s_wait_alu 0xfffe
	s_or_b32 exec_lo, exec_lo, s1
	s_wait_loadcnt 0x0
	s_wait_storecnt 0x0
	s_barrier_signal -1
	s_barrier_wait -1
	global_inv scope:SCOPE_SE
	s_and_saveexec_b32 s1, s0
	s_cbranch_execz .LBB3_59
; %bb.48:
	s_mov_b32 s1, exec_lo
	s_mov_b32 s0, exec_lo
	s_wait_alu 0xfffe
	v_mbcnt_lo_u32_b32 v0, s1, 0
                                        ; implicit-def: $vgpr1
	s_delay_alu instid0(VALU_DEP_1)
	v_cmpx_eq_u32_e32 0, v0
	s_cbranch_execz .LBB3_50
; %bb.49:
	s_bcnt1_i32_b32 s1, s1
	s_wait_alu 0xfffe
	s_sub_co_i32 s1, 0, s1
	s_wait_alu 0xfffe
	v_dual_mov_b32 v1, 0 :: v_dual_mov_b32 v2, s1
	global_atomic_add_u32 v1, v1, v2, s[26:27] th:TH_ATOMIC_RETURN scope:SCOPE_DEV
.LBB3_50:
	s_or_b32 exec_lo, exec_lo, s0
	s_wait_loadcnt 0x0
	v_readfirstlane_b32 s0, v1
	s_wait_alu 0xf1ff
	s_delay_alu instid0(VALU_DEP_1) | instskip(NEXT) | instid1(VALU_DEP_1)
	v_sub_nc_u32_e32 v0, s0, v0
	v_cmp_eq_u32_e32 vcc_lo, 0, v0
	s_and_b32 exec_lo, exec_lo, vcc_lo
	s_cbranch_execz .LBB3_59
; %bb.51:
	v_mov_b32_e32 v0, 0
	s_clause 0x3
	global_load_b32 v1, v0, s[4:5]
	global_load_b32 v2, v0, s[6:7]
	;; [unrolled: 1-line block ×4, first 2 shown]
	s_wait_loadcnt 0x3
	v_readfirstlane_b32 s4, v1
	s_wait_loadcnt 0x2
	v_cmp_ge_u32_e32 vcc_lo, v1, v2
	v_readfirstlane_b32 s0, v2
	s_wait_loadcnt 0x1
	v_readfirstlane_b32 s6, v3
	s_wait_loadcnt 0x0
	v_readfirstlane_b32 s10, v4
	s_cbranch_vccnz .LBB3_54
; %bb.52:
	s_mov_b32 s5, 0
	v_mov_b32_e32 v1, s18
	s_lshl_b64 s[14:15], s[4:5], 2
	s_mov_b32 s1, s4
	s_wait_alu 0xfffe
	s_add_nc_u64 s[8:9], s[8:9], s[14:15]
.LBB3_53:                               ; =>This Inner Loop Header: Depth=1
	s_add_co_i32 s1, s1, 1
	global_store_b32 v0, v1, s[8:9]
	s_wait_alu 0xfffe
	s_cmp_lt_u32 s1, s0
	s_add_nc_u64 s[8:9], s[8:9], 4
	s_cbranch_scc1 .LBB3_53
.LBB3_54:
	s_mov_b32 s7, 0
	s_add_co_i32 s14, s10, -1
	s_wait_alu 0xfffe
	s_lshl_b64 s[8:9], s[6:7], 2
	s_mov_b32 s15, s7
	s_add_nc_u64 s[8:9], s[2:3], s[8:9]
	global_load_b32 v2, v0, s[8:9]
	s_wait_alu 0xfffe
	s_lshl_b64 s[8:9], s[14:15], 2
	s_cmp_ge_u32 s6, s4
	s_add_nc_u64 s[8:9], s[2:3], s[8:9]
	global_load_b32 v1, v0, s[8:9]
	s_wait_loadcnt 0x1
	v_cvt_u32_f32_e32 v0, v2
	s_cbranch_scc1 .LBB3_56
; %bb.55:
	s_add_co_i32 s1, s6, s4
	s_mov_b32 s9, s7
	s_wait_alu 0xfffe
	s_lshr_b32 s8, s1, 1
	v_mov_b32_e32 v2, 0
	s_lshl_b64 s[8:9], s[8:9], 2
	s_add_co_i32 s14, s4, -1
	s_add_nc_u64 s[8:9], s[2:3], s[8:9]
	s_mov_b32 s15, s7
	global_load_b32 v3, v2, s[8:9]
	s_wait_alu 0xfffe
	s_lshl_b64 s[8:9], s[14:15], 2
	s_delay_alu instid0(SALU_CYCLE_1)
	s_add_nc_u64 s[8:9], s[2:3], s[8:9]
	global_load_b32 v2, v2, s[8:9]
	s_wait_loadcnt 0x1
	v_cvt_u32_f32_e32 v3, v3
	s_wait_loadcnt 0x0
	v_cvt_u32_f32_e32 v2, v2
	s_delay_alu instid0(VALU_DEP_2) | instskip(SKIP_1) | instid1(VALU_DEP_2)
	v_min_u32_e32 v4, v0, v3
	v_max_u32_e32 v0, v0, v3
	v_max_u32_e32 v3, v4, v2
	s_delay_alu instid0(VALU_DEP_2) | instskip(SKIP_1) | instid1(VALU_DEP_2)
	v_cmp_lt_u32_e32 vcc_lo, v0, v2
	s_wait_alu 0xfffd
	v_cndmask_b32_e32 v0, v3, v0, vcc_lo
.LBB3_56:
	s_wait_loadcnt 0x0
	v_cvt_u32_f32_e32 v1, v1
	s_cmp_ge_u32 s0, s10
	s_cbranch_scc1 .LBB3_58
; %bb.57:
	s_mov_b32 s1, 0
	s_add_co_i32 s5, s10, s0
	v_mov_b32_e32 v2, 0
	s_lshr_b32 s8, s5, 1
	s_wait_alu 0xfffe
	s_mov_b32 s9, s1
	s_lshl_b64 s[14:15], s[0:1], 2
	s_lshl_b64 s[8:9], s[8:9], 2
	s_wait_alu 0xfffe
	s_add_nc_u64 s[14:15], s[2:3], s[14:15]
	s_add_nc_u64 s[2:3], s[2:3], s[8:9]
	s_clause 0x1
	global_load_b32 v3, v2, s[14:15]
	global_load_b32 v2, v2, s[2:3]
	s_wait_loadcnt 0x1
	v_cvt_u32_f32_e32 v3, v3
	s_wait_loadcnt 0x0
	v_cvt_u32_f32_e32 v2, v2
	s_delay_alu instid0(VALU_DEP_1) | instskip(SKIP_1) | instid1(VALU_DEP_2)
	v_min_u32_e32 v4, v3, v2
	v_max_u32_e32 v2, v3, v2
	v_max_u32_e32 v3, v4, v1
	s_delay_alu instid0(VALU_DEP_2) | instskip(SKIP_1) | instid1(VALU_DEP_2)
	v_cmp_lt_u32_e32 vcc_lo, v2, v1
	s_wait_alu 0xfffd
	v_cndmask_b32_e32 v1, v3, v2, vcc_lo
.LBB3_58:
	s_xor_b32 s1, s19, 1
	s_lshl_b32 s2, ttmp9, 1
	s_mov_b32 s3, 0
	v_dual_mov_b32 v6, 0 :: v_dual_mov_b32 v3, s4
	v_cvt_f32_u32_e32 v4, v0
	s_wait_alu 0xfffe
	v_dual_mov_b32 v2, s6 :: v_dual_mov_b32 v5, s1
	s_lshl_b64 s[2:3], s[2:3], 4
	s_wait_alu 0xfffe
	s_add_nc_u64 s[2:3], s[12:13], s[2:3]
	global_store_b128 v6, v[2:5], s[2:3]
	v_cvt_f32_u32_e32 v4, v1
	v_dual_mov_b32 v2, s0 :: v_dual_mov_b32 v3, s10
	global_store_b128 v6, v[2:5], s[2:3] offset:16
.LBB3_59:
	s_endpgm
	.section	.rodata,"a",@progbits
	.p2align	6, 0x0
	.amdhsa_kernel _Z13gqsort_kernelIfEvPT_S1_P12block_recordIS0_EP13parent_recordP11work_recordIS0_E
		.amdhsa_group_segment_fixed_size 1048
		.amdhsa_private_segment_fixed_size 0
		.amdhsa_kernarg_size 40
		.amdhsa_user_sgpr_count 2
		.amdhsa_user_sgpr_dispatch_ptr 0
		.amdhsa_user_sgpr_queue_ptr 0
		.amdhsa_user_sgpr_kernarg_segment_ptr 1
		.amdhsa_user_sgpr_dispatch_id 0
		.amdhsa_user_sgpr_private_segment_size 0
		.amdhsa_wavefront_size32 1
		.amdhsa_uses_dynamic_stack 0
		.amdhsa_enable_private_segment 0
		.amdhsa_system_sgpr_workgroup_id_x 1
		.amdhsa_system_sgpr_workgroup_id_y 0
		.amdhsa_system_sgpr_workgroup_id_z 0
		.amdhsa_system_sgpr_workgroup_info 0
		.amdhsa_system_vgpr_workitem_id 0
		.amdhsa_next_free_vgpr 22
		.amdhsa_next_free_sgpr 30
		.amdhsa_reserve_vcc 1
		.amdhsa_float_round_mode_32 0
		.amdhsa_float_round_mode_16_64 0
		.amdhsa_float_denorm_mode_32 3
		.amdhsa_float_denorm_mode_16_64 3
		.amdhsa_fp16_overflow 0
		.amdhsa_workgroup_processor_mode 1
		.amdhsa_memory_ordered 1
		.amdhsa_forward_progress 1
		.amdhsa_inst_pref_size 27
		.amdhsa_round_robin_scheduling 0
		.amdhsa_exception_fp_ieee_invalid_op 0
		.amdhsa_exception_fp_denorm_src 0
		.amdhsa_exception_fp_ieee_div_zero 0
		.amdhsa_exception_fp_ieee_overflow 0
		.amdhsa_exception_fp_ieee_underflow 0
		.amdhsa_exception_fp_ieee_inexact 0
		.amdhsa_exception_int_div_zero 0
	.end_amdhsa_kernel
	.section	.text._Z13gqsort_kernelIfEvPT_S1_P12block_recordIS0_EP13parent_recordP11work_recordIS0_E,"axG",@progbits,_Z13gqsort_kernelIfEvPT_S1_P12block_recordIS0_EP13parent_recordP11work_recordIS0_E,comdat
.Lfunc_end3:
	.size	_Z13gqsort_kernelIfEvPT_S1_P12block_recordIS0_EP13parent_recordP11work_recordIS0_E, .Lfunc_end3-_Z13gqsort_kernelIfEvPT_S1_P12block_recordIS0_EP13parent_recordP11work_recordIS0_E
                                        ; -- End function
	.set _Z13gqsort_kernelIfEvPT_S1_P12block_recordIS0_EP13parent_recordP11work_recordIS0_E.num_vgpr, 22
	.set _Z13gqsort_kernelIfEvPT_S1_P12block_recordIS0_EP13parent_recordP11work_recordIS0_E.num_agpr, 0
	.set _Z13gqsort_kernelIfEvPT_S1_P12block_recordIS0_EP13parent_recordP11work_recordIS0_E.numbered_sgpr, 30
	.set _Z13gqsort_kernelIfEvPT_S1_P12block_recordIS0_EP13parent_recordP11work_recordIS0_E.num_named_barrier, 0
	.set _Z13gqsort_kernelIfEvPT_S1_P12block_recordIS0_EP13parent_recordP11work_recordIS0_E.private_seg_size, 0
	.set _Z13gqsort_kernelIfEvPT_S1_P12block_recordIS0_EP13parent_recordP11work_recordIS0_E.uses_vcc, 1
	.set _Z13gqsort_kernelIfEvPT_S1_P12block_recordIS0_EP13parent_recordP11work_recordIS0_E.uses_flat_scratch, 0
	.set _Z13gqsort_kernelIfEvPT_S1_P12block_recordIS0_EP13parent_recordP11work_recordIS0_E.has_dyn_sized_stack, 0
	.set _Z13gqsort_kernelIfEvPT_S1_P12block_recordIS0_EP13parent_recordP11work_recordIS0_E.has_recursion, 0
	.set _Z13gqsort_kernelIfEvPT_S1_P12block_recordIS0_EP13parent_recordP11work_recordIS0_E.has_indirect_call, 0
	.section	.AMDGPU.csdata,"",@progbits
; Kernel info:
; codeLenInByte = 3388
; TotalNumSgprs: 32
; NumVgprs: 22
; ScratchSize: 0
; MemoryBound: 0
; FloatMode: 240
; IeeeMode: 1
; LDSByteSize: 1048 bytes/workgroup (compile time only)
; SGPRBlocks: 0
; VGPRBlocks: 2
; NumSGPRsForWavesPerEU: 32
; NumVGPRsForWavesPerEU: 22
; Occupancy: 16
; WaveLimiterHint : 1
; COMPUTE_PGM_RSRC2:SCRATCH_EN: 0
; COMPUTE_PGM_RSRC2:USER_SGPR: 2
; COMPUTE_PGM_RSRC2:TRAP_HANDLER: 0
; COMPUTE_PGM_RSRC2:TGID_X_EN: 1
; COMPUTE_PGM_RSRC2:TGID_Y_EN: 0
; COMPUTE_PGM_RSRC2:TGID_Z_EN: 0
; COMPUTE_PGM_RSRC2:TIDIG_COMP_CNT: 0
	.text
	.p2align	2                               ; -- Begin function _Z14sort_thresholdIfEvPT_S1_jjS1_j
	.type	_Z14sort_thresholdIfEvPT_S1_jjS1_j,@function
_Z14sort_thresholdIfEvPT_S1_jjS1_j:     ; @_Z14sort_thresholdIfEvPT_S1_jjS1_j
; %bb.0:
	s_wait_loadcnt_dscnt 0x0
	s_wait_expcnt 0x0
	s_wait_samplecnt 0x0
	s_wait_bvhcnt 0x0
	s_wait_kmcnt 0x0
	v_sub_nc_u32_e32 v5, v5, v4
	s_mov_b32 s0, exec_lo
	s_delay_alu instid0(VALU_DEP_1)
	v_cmpx_ne_u32_e32 0x100, v5
	s_wait_alu 0xfffe
	s_xor_b32 s1, exec_lo, s0
	s_cbranch_execnz .LBB4_3
; %bb.1:
	s_wait_alu 0xfffe
	s_and_not1_saveexec_b32 s1, s1
	s_cbranch_execnz .LBB4_18
.LBB4_2:
	s_wait_alu 0xfffe
	s_or_b32 exec_lo, exec_lo, s1
	s_wait_loadcnt_dscnt 0x0
	s_setpc_b64 s[30:31]
.LBB4_3:
	s_mov_b32 s0, exec_lo
	v_cmpx_gt_u32_e32 2, v5
	s_wait_alu 0xfffe
	s_xor_b32 s2, exec_lo, s0
	s_cbranch_execz .LBB4_7
; %bb.4:
	v_cmp_eq_u32_e32 vcc_lo, 1, v5
	v_cmp_eq_u32_e64 s0, 0, v6
	s_and_b32 s3, vcc_lo, s0
	s_wait_alu 0xfffe
	s_and_saveexec_b32 s0, s3
	s_cbranch_execz .LBB4_6
; %bb.5:
	v_mov_b32_e32 v5, 0
	s_delay_alu instid0(VALU_DEP_1) | instskip(NEXT) | instid1(VALU_DEP_1)
	v_lshlrev_b64_e32 v[4:5], 2, v[4:5]
	v_add_co_u32 v0, vcc_lo, v0, v4
	s_wait_alu 0xfffd
	s_delay_alu instid0(VALU_DEP_2)
	v_add_co_ci_u32_e64 v1, null, v1, v5, vcc_lo
	flat_load_b32 v6, v[0:1]
	v_add_co_u32 v0, vcc_lo, v2, v4
	s_wait_alu 0xfffd
	v_add_co_ci_u32_e64 v1, null, v3, v5, vcc_lo
	s_wait_loadcnt_dscnt 0x0
	flat_store_b32 v[0:1], v6
.LBB4_6:
	s_wait_alu 0xfffe
	s_or_b32 exec_lo, exec_lo, s0
                                        ; implicit-def: $vgpr6
                                        ; implicit-def: $vgpr5
                                        ; implicit-def: $vgpr4
                                        ; implicit-def: $vgpr2
                                        ; implicit-def: $vgpr3
                                        ; implicit-def: $vgpr0
                                        ; implicit-def: $vgpr1
.LBB4_7:
	s_wait_alu 0xfffe
	s_and_not1_saveexec_b32 s2, s2
	s_cbranch_execz .LBB4_17
; %bb.8:
	v_lshl_add_u32 v9, v6, 2, 0x3600
	s_mov_b32 s0, exec_lo
	v_cmpx_gt_u32_e32 0x100, v6
	s_cbranch_execz .LBB4_13
; %bb.9:
	v_lshl_add_u32 v10, v6, 2, 0x3600
	v_dual_mov_b32 v8, 0 :: v_dual_mov_b32 v11, v6
	s_mov_b32 s3, 0
	s_branch .LBB4_11
.LBB4_10:                               ;   in Loop: Header=BB4_11 Depth=1
	s_wait_alu 0xfffe
	s_or_b32 exec_lo, exec_lo, s4
	v_add_nc_u32_e32 v12, 0x80, v11
	v_cmp_lt_u32_e32 vcc_lo, 0x7f, v11
	s_wait_loadcnt_dscnt 0x0
	ds_store_b32 v10, v7
	v_dual_mov_b32 v11, v12 :: v_dual_add_nc_u32 v10, 0x200, v10
	s_or_b32 s3, vcc_lo, s3
	s_wait_alu 0xfffe
	s_and_not1_b32 exec_lo, exec_lo, s3
	s_cbranch_execz .LBB4_13
.LBB4_11:                               ; =>This Inner Loop Header: Depth=1
	v_mov_b32_e32 v7, 0x4f800000
	s_mov_b32 s4, exec_lo
	v_cmpx_lt_u32_e64 v11, v5
	s_cbranch_execz .LBB4_10
; %bb.12:                               ;   in Loop: Header=BB4_11 Depth=1
	v_add_nc_u32_e32 v7, v4, v11
	s_delay_alu instid0(VALU_DEP_1) | instskip(NEXT) | instid1(VALU_DEP_1)
	v_lshlrev_b64_e32 v[12:13], 2, v[7:8]
	v_add_co_u32 v12, vcc_lo, v0, v12
	s_wait_alu 0xfffd
	s_delay_alu instid0(VALU_DEP_2)
	v_add_co_ci_u32_e64 v13, null, v1, v13, vcc_lo
	flat_load_b32 v7, v[12:13]
	s_branch .LBB4_10
.LBB4_13:
	s_wait_alu 0xfffe
	s_or_b32 exec_lo, exec_lo, s0
	v_and_b32_e32 v10, 1, v6
	s_wait_storecnt_dscnt 0x0
	s_barrier_signal -1
	s_barrier_wait -1
	global_inv scope:SCOPE_SE
	v_cmp_eq_u32_e32 vcc_lo, 0, v10
	v_lshlrev_b32_e32 v0, 3, v6
	s_mov_b32 s3, 0
	s_mov_b32 s4, exec_lo
	ds_load_b64 v[7:8], v0 offset:13824
	s_wait_dscnt 0x0
	v_cvt_u32_f32_e32 v1, v7
	v_cvt_u32_f32_e32 v7, v8
	v_lshlrev_b32_e32 v8, 1, v6
	s_delay_alu instid0(VALU_DEP_2) | instskip(SKIP_1) | instid1(VALU_DEP_3)
	v_max_u32_e32 v11, v1, v7
	v_min_u32_e32 v1, v1, v7
	v_sub_nc_u32_e32 v7, v8, v10
	s_wait_alu 0xfffd
	s_delay_alu instid0(VALU_DEP_1) | instskip(SKIP_1) | instid1(VALU_DEP_2)
	v_dual_cndmask_b32 v10, v11, v1 :: v_dual_lshlrev_b32 v7, 2, v7
	v_cndmask_b32_e32 v1, v1, v11, vcc_lo
	v_cvt_f32_u32_e32 v10, v10
	s_delay_alu instid0(VALU_DEP_2) | instskip(NEXT) | instid1(VALU_DEP_4)
	v_cvt_f32_u32_e32 v11, v1
	v_add_nc_u32_e32 v1, 0x3400, v7
	ds_store_b64 v0, v[10:11] offset:13824
	s_wait_loadcnt_dscnt 0x0
	s_barrier_signal -1
	s_barrier_wait -1
	global_inv scope:SCOPE_SE
	ds_load_2addr_b32 v[10:11], v1 offset0:128 offset1:130
	s_wait_dscnt 0x0
	v_cvt_u32_f32_e32 v7, v10
	v_cvt_u32_f32_e32 v10, v11
	s_delay_alu instid0(VALU_DEP_1) | instskip(SKIP_2) | instid1(VALU_DEP_1)
	v_max_u32_e32 v12, v7, v10
	v_min_u32_e32 v7, v7, v10
	v_and_b32_e32 v11, 2, v6
	v_cmp_eq_u32_e32 vcc_lo, 0, v11
	s_wait_alu 0xfffd
	s_delay_alu instid0(VALU_DEP_3) | instskip(NEXT) | instid1(VALU_DEP_1)
	v_dual_cndmask_b32 v10, v12, v7 :: v_dual_cndmask_b32 v7, v7, v12
	v_cvt_f32_u32_e32 v10, v10
	s_delay_alu instid0(VALU_DEP_2)
	v_cvt_f32_u32_e32 v7, v7
	ds_store_2addr_b32 v1, v10, v7 offset0:128 offset1:130
	s_wait_loadcnt_dscnt 0x0
	s_barrier_signal -1
	s_barrier_wait -1
	global_inv scope:SCOPE_SE
	ds_load_b64 v[10:11], v0 offset:13824
	s_wait_dscnt 0x0
	v_cvt_u32_f32_e32 v7, v10
	v_cvt_u32_f32_e32 v10, v11
	v_and_b32_e32 v11, 3, v6
	s_delay_alu instid0(VALU_DEP_2) | instskip(SKIP_1) | instid1(VALU_DEP_3)
	v_max_u32_e32 v12, v7, v10
	v_min_u32_e32 v7, v7, v10
	v_sub_nc_u32_e32 v10, v8, v11
	s_delay_alu instid0(VALU_DEP_2) | instskip(NEXT) | instid1(VALU_DEP_2)
	v_cndmask_b32_e32 v11, v12, v7, vcc_lo
	v_dual_cndmask_b32 v7, v7, v12 :: v_dual_lshlrev_b32 v12, 2, v10
	s_delay_alu instid0(VALU_DEP_2) | instskip(NEXT) | instid1(VALU_DEP_2)
	v_cvt_f32_u32_e32 v10, v11
	v_cvt_f32_u32_e32 v11, v7
	s_delay_alu instid0(VALU_DEP_3)
	v_add_nc_u32_e32 v7, 0x3400, v12
	v_and_b32_e32 v12, 4, v6
	ds_store_b64 v0, v[10:11] offset:13824
	s_wait_loadcnt_dscnt 0x0
	s_barrier_signal -1
	s_barrier_wait -1
	global_inv scope:SCOPE_SE
	ds_load_2addr_b32 v[10:11], v7 offset0:128 offset1:132
	v_cmp_eq_u32_e32 vcc_lo, 0, v12
	s_wait_dscnt 0x0
	v_cvt_u32_f32_e32 v10, v10
	v_cvt_u32_f32_e32 v11, v11
	s_delay_alu instid0(VALU_DEP_1) | instskip(SKIP_2) | instid1(VALU_DEP_1)
	v_max_u32_e32 v13, v10, v11
	v_min_u32_e32 v10, v10, v11
	s_wait_alu 0xfffd
	v_dual_cndmask_b32 v11, v13, v10 :: v_dual_cndmask_b32 v10, v10, v13
	s_delay_alu instid0(VALU_DEP_1) | instskip(NEXT) | instid1(VALU_DEP_2)
	v_cvt_f32_u32_e32 v11, v11
	v_cvt_f32_u32_e32 v10, v10
	ds_store_2addr_b32 v7, v11, v10 offset0:128 offset1:132
	s_wait_loadcnt_dscnt 0x0
	s_barrier_signal -1
	s_barrier_wait -1
	global_inv scope:SCOPE_SE
	ds_load_2addr_b32 v[10:11], v1 offset0:128 offset1:130
	s_wait_dscnt 0x0
	v_cvt_u32_f32_e32 v10, v10
	v_cvt_u32_f32_e32 v11, v11
	s_delay_alu instid0(VALU_DEP_1) | instskip(SKIP_1) | instid1(VALU_DEP_1)
	v_max_u32_e32 v12, v10, v11
	v_min_u32_e32 v10, v10, v11
	v_dual_cndmask_b32 v11, v12, v10 :: v_dual_cndmask_b32 v10, v10, v12
	v_and_b32_e32 v12, 7, v6
	s_delay_alu instid0(VALU_DEP_2) | instskip(NEXT) | instid1(VALU_DEP_3)
	v_cvt_f32_u32_e32 v11, v11
	v_cvt_f32_u32_e32 v10, v10
	ds_store_2addr_b32 v1, v11, v10 offset0:128 offset1:130
	s_wait_loadcnt_dscnt 0x0
	s_barrier_signal -1
	s_barrier_wait -1
	global_inv scope:SCOPE_SE
	ds_load_b64 v[10:11], v0 offset:13824
	s_wait_dscnt 0x0
	v_cvt_u32_f32_e32 v10, v10
	v_cvt_u32_f32_e32 v11, v11
	s_delay_alu instid0(VALU_DEP_1) | instskip(SKIP_2) | instid1(VALU_DEP_2)
	v_max_u32_e32 v13, v10, v11
	v_min_u32_e32 v10, v10, v11
	v_sub_nc_u32_e32 v11, v8, v12
	v_cndmask_b32_e32 v12, v13, v10, vcc_lo
	s_delay_alu instid0(VALU_DEP_2) | instskip(NEXT) | instid1(VALU_DEP_2)
	v_dual_cndmask_b32 v10, v10, v13 :: v_dual_lshlrev_b32 v13, 2, v11
	v_cvt_f32_u32_e32 v11, v12
	s_delay_alu instid0(VALU_DEP_2) | instskip(NEXT) | instid1(VALU_DEP_3)
	v_cvt_f32_u32_e32 v12, v10
	v_add_nc_u32_e32 v10, 0x3400, v13
	ds_store_b64 v0, v[11:12] offset:13824
	s_wait_loadcnt_dscnt 0x0
	s_barrier_signal -1
	s_barrier_wait -1
	global_inv scope:SCOPE_SE
	ds_load_2addr_b32 v[11:12], v10 offset0:128 offset1:136
	s_wait_dscnt 0x0
	v_cvt_u32_f32_e32 v11, v11
	v_cvt_u32_f32_e32 v12, v12
	s_delay_alu instid0(VALU_DEP_1) | instskip(SKIP_2) | instid1(VALU_DEP_1)
	v_max_u32_e32 v14, v11, v12
	v_min_u32_e32 v11, v11, v12
	v_and_b32_e32 v13, 8, v6
	v_cmp_eq_u32_e32 vcc_lo, 0, v13
	s_wait_alu 0xfffd
	s_delay_alu instid0(VALU_DEP_3) | instskip(NEXT) | instid1(VALU_DEP_1)
	v_dual_cndmask_b32 v12, v14, v11 :: v_dual_cndmask_b32 v11, v11, v14
	v_cvt_f32_u32_e32 v12, v12
	s_delay_alu instid0(VALU_DEP_2)
	v_cvt_f32_u32_e32 v11, v11
	ds_store_2addr_b32 v10, v12, v11 offset0:128 offset1:136
	s_wait_loadcnt_dscnt 0x0
	s_barrier_signal -1
	s_barrier_wait -1
	global_inv scope:SCOPE_SE
	ds_load_2addr_b32 v[11:12], v7 offset0:128 offset1:132
	s_wait_dscnt 0x0
	v_cvt_u32_f32_e32 v11, v11
	v_cvt_u32_f32_e32 v12, v12
	s_delay_alu instid0(VALU_DEP_1) | instskip(SKIP_1) | instid1(VALU_DEP_1)
	v_max_u32_e32 v13, v11, v12
	v_min_u32_e32 v11, v11, v12
	v_dual_cndmask_b32 v12, v13, v11 :: v_dual_cndmask_b32 v11, v11, v13
	s_delay_alu instid0(VALU_DEP_1) | instskip(NEXT) | instid1(VALU_DEP_2)
	v_cvt_f32_u32_e32 v12, v12
	v_cvt_f32_u32_e32 v11, v11
	ds_store_2addr_b32 v7, v12, v11 offset0:128 offset1:132
	s_wait_loadcnt_dscnt 0x0
	s_barrier_signal -1
	s_barrier_wait -1
	global_inv scope:SCOPE_SE
	ds_load_2addr_b32 v[11:12], v1 offset0:128 offset1:130
	s_wait_dscnt 0x0
	v_cvt_u32_f32_e32 v11, v11
	v_cvt_u32_f32_e32 v12, v12
	s_delay_alu instid0(VALU_DEP_1) | instskip(SKIP_1) | instid1(VALU_DEP_1)
	v_max_u32_e32 v13, v11, v12
	v_min_u32_e32 v11, v11, v12
	v_dual_cndmask_b32 v12, v13, v11 :: v_dual_cndmask_b32 v11, v11, v13
	v_and_b32_e32 v13, 15, v6
	s_delay_alu instid0(VALU_DEP_2) | instskip(NEXT) | instid1(VALU_DEP_3)
	v_cvt_f32_u32_e32 v12, v12
	v_cvt_f32_u32_e32 v11, v11
	ds_store_2addr_b32 v1, v12, v11 offset0:128 offset1:130
	s_wait_loadcnt_dscnt 0x0
	s_barrier_signal -1
	s_barrier_wait -1
	global_inv scope:SCOPE_SE
	ds_load_b64 v[11:12], v0 offset:13824
	s_wait_dscnt 0x0
	v_cvt_u32_f32_e32 v11, v11
	v_cvt_u32_f32_e32 v12, v12
	s_delay_alu instid0(VALU_DEP_1) | instskip(SKIP_2) | instid1(VALU_DEP_2)
	v_max_u32_e32 v14, v11, v12
	v_min_u32_e32 v11, v11, v12
	v_sub_nc_u32_e32 v12, v8, v13
	v_dual_cndmask_b32 v13, v14, v11 :: v_dual_cndmask_b32 v14, v11, v14
	s_delay_alu instid0(VALU_DEP_2) | instskip(NEXT) | instid1(VALU_DEP_2)
	v_lshlrev_b32_e32 v15, 2, v12
	v_cvt_f32_u32_e32 v12, v14
	v_and_b32_e32 v14, 16, v6
	s_delay_alu instid0(VALU_DEP_4) | instskip(NEXT) | instid1(VALU_DEP_4)
	v_cvt_f32_u32_e32 v11, v13
	v_add_nc_u32_e32 v13, 0x3400, v15
	s_delay_alu instid0(VALU_DEP_3)
	v_cmp_eq_u32_e32 vcc_lo, 0, v14
	ds_store_b64 v0, v[11:12] offset:13824
	s_wait_loadcnt_dscnt 0x0
	s_barrier_signal -1
	s_barrier_wait -1
	global_inv scope:SCOPE_SE
	ds_load_2addr_b32 v[11:12], v13 offset0:128 offset1:144
	s_wait_dscnt 0x0
	v_cvt_u32_f32_e32 v11, v11
	v_cvt_u32_f32_e32 v12, v12
	s_delay_alu instid0(VALU_DEP_1) | instskip(SKIP_2) | instid1(VALU_DEP_1)
	v_max_u32_e32 v15, v11, v12
	v_min_u32_e32 v11, v11, v12
	s_wait_alu 0xfffd
	v_cndmask_b32_e32 v12, v15, v11, vcc_lo
	v_cndmask_b32_e32 v11, v11, v15, vcc_lo
	s_delay_alu instid0(VALU_DEP_2) | instskip(NEXT) | instid1(VALU_DEP_2)
	v_cvt_f32_u32_e32 v12, v12
	v_cvt_f32_u32_e32 v11, v11
	ds_store_2addr_b32 v13, v12, v11 offset0:128 offset1:144
	s_wait_loadcnt_dscnt 0x0
	s_barrier_signal -1
	s_barrier_wait -1
	global_inv scope:SCOPE_SE
	ds_load_2addr_b32 v[11:12], v10 offset0:128 offset1:136
	s_wait_dscnt 0x0
	v_cvt_u32_f32_e32 v11, v11
	v_cvt_u32_f32_e32 v12, v12
	s_delay_alu instid0(VALU_DEP_1) | instskip(SKIP_1) | instid1(VALU_DEP_1)
	v_max_u32_e32 v14, v11, v12
	v_min_u32_e32 v11, v11, v12
	v_dual_cndmask_b32 v12, v14, v11 :: v_dual_cndmask_b32 v11, v11, v14
	s_delay_alu instid0(VALU_DEP_1) | instskip(NEXT) | instid1(VALU_DEP_2)
	v_cvt_f32_u32_e32 v12, v12
	v_cvt_f32_u32_e32 v11, v11
	ds_store_2addr_b32 v10, v12, v11 offset0:128 offset1:136
	s_wait_loadcnt_dscnt 0x0
	s_barrier_signal -1
	s_barrier_wait -1
	global_inv scope:SCOPE_SE
	ds_load_2addr_b32 v[11:12], v7 offset0:128 offset1:132
	s_wait_dscnt 0x0
	v_cvt_u32_f32_e32 v11, v11
	v_cvt_u32_f32_e32 v12, v12
	s_delay_alu instid0(VALU_DEP_1) | instskip(SKIP_1) | instid1(VALU_DEP_1)
	v_max_u32_e32 v14, v11, v12
	v_min_u32_e32 v11, v11, v12
	v_dual_cndmask_b32 v12, v14, v11 :: v_dual_cndmask_b32 v11, v11, v14
	s_delay_alu instid0(VALU_DEP_1) | instskip(NEXT) | instid1(VALU_DEP_2)
	v_cvt_f32_u32_e32 v12, v12
	v_cvt_f32_u32_e32 v11, v11
	ds_store_2addr_b32 v7, v12, v11 offset0:128 offset1:132
	s_wait_loadcnt_dscnt 0x0
	s_barrier_signal -1
	s_barrier_wait -1
	global_inv scope:SCOPE_SE
	ds_load_2addr_b32 v[11:12], v1 offset0:128 offset1:130
	s_wait_dscnt 0x0
	v_cvt_u32_f32_e32 v11, v11
	v_cvt_u32_f32_e32 v12, v12
	s_delay_alu instid0(VALU_DEP_1) | instskip(SKIP_1) | instid1(VALU_DEP_1)
	v_max_u32_e32 v14, v11, v12
	v_min_u32_e32 v11, v11, v12
	v_dual_cndmask_b32 v12, v14, v11 :: v_dual_cndmask_b32 v11, v11, v14
	v_and_b32_e32 v14, 31, v6
	s_delay_alu instid0(VALU_DEP_2) | instskip(NEXT) | instid1(VALU_DEP_3)
	v_cvt_f32_u32_e32 v12, v12
	v_cvt_f32_u32_e32 v11, v11
	ds_store_2addr_b32 v1, v12, v11 offset0:128 offset1:130
	s_wait_loadcnt_dscnt 0x0
	s_barrier_signal -1
	s_barrier_wait -1
	global_inv scope:SCOPE_SE
	ds_load_b64 v[11:12], v0 offset:13824
	s_wait_dscnt 0x0
	v_cvt_u32_f32_e32 v11, v11
	v_cvt_u32_f32_e32 v12, v12
	s_delay_alu instid0(VALU_DEP_1) | instskip(SKIP_2) | instid1(VALU_DEP_2)
	v_max_u32_e32 v15, v11, v12
	v_min_u32_e32 v11, v11, v12
	v_sub_nc_u32_e32 v12, v8, v14
	v_cndmask_b32_e32 v14, v15, v11, vcc_lo
	s_delay_alu instid0(VALU_DEP_2) | instskip(NEXT) | instid1(VALU_DEP_2)
	v_dual_cndmask_b32 v15, v11, v15 :: v_dual_lshlrev_b32 v16, 2, v12
	v_cvt_f32_u32_e32 v11, v14
	s_delay_alu instid0(VALU_DEP_2) | instskip(NEXT) | instid1(VALU_DEP_3)
	v_add_nc_u32_e32 v14, 0x3400, v16
	v_cvt_f32_u32_e32 v12, v15
	v_and_b32_e32 v15, 32, v6
	ds_store_b64 v0, v[11:12] offset:13824
	s_wait_loadcnt_dscnt 0x0
	s_barrier_signal -1
	s_barrier_wait -1
	global_inv scope:SCOPE_SE
	ds_load_2addr_b32 v[11:12], v14 offset0:128 offset1:160
	v_cmp_eq_u32_e32 vcc_lo, 0, v15
	s_wait_dscnt 0x0
	v_cvt_u32_f32_e32 v11, v11
	v_cvt_u32_f32_e32 v12, v12
	s_delay_alu instid0(VALU_DEP_1) | instskip(SKIP_2) | instid1(VALU_DEP_1)
	v_max_u32_e32 v16, v11, v12
	v_min_u32_e32 v11, v11, v12
	s_wait_alu 0xfffd
	v_dual_cndmask_b32 v12, v16, v11 :: v_dual_cndmask_b32 v11, v11, v16
	s_delay_alu instid0(VALU_DEP_1) | instskip(NEXT) | instid1(VALU_DEP_2)
	v_cvt_f32_u32_e32 v12, v12
	v_cvt_f32_u32_e32 v11, v11
	ds_store_2addr_b32 v14, v12, v11 offset0:128 offset1:160
	s_wait_loadcnt_dscnt 0x0
	s_barrier_signal -1
	s_barrier_wait -1
	global_inv scope:SCOPE_SE
	ds_load_2addr_b32 v[11:12], v13 offset0:128 offset1:144
	s_wait_dscnt 0x0
	v_cvt_u32_f32_e32 v11, v11
	v_cvt_u32_f32_e32 v12, v12
	s_delay_alu instid0(VALU_DEP_1) | instskip(SKIP_1) | instid1(VALU_DEP_1)
	v_max_u32_e32 v15, v11, v12
	v_min_u32_e32 v11, v11, v12
	v_cndmask_b32_e32 v12, v15, v11, vcc_lo
	v_cndmask_b32_e32 v11, v11, v15, vcc_lo
	s_delay_alu instid0(VALU_DEP_2) | instskip(NEXT) | instid1(VALU_DEP_2)
	v_cvt_f32_u32_e32 v12, v12
	v_cvt_f32_u32_e32 v11, v11
	ds_store_2addr_b32 v13, v12, v11 offset0:128 offset1:144
	s_wait_loadcnt_dscnt 0x0
	s_barrier_signal -1
	s_barrier_wait -1
	global_inv scope:SCOPE_SE
	ds_load_2addr_b32 v[11:12], v10 offset0:128 offset1:136
	s_wait_dscnt 0x0
	v_cvt_u32_f32_e32 v11, v11
	v_cvt_u32_f32_e32 v12, v12
	s_delay_alu instid0(VALU_DEP_1) | instskip(SKIP_1) | instid1(VALU_DEP_1)
	v_max_u32_e32 v15, v11, v12
	v_min_u32_e32 v11, v11, v12
	v_cndmask_b32_e32 v12, v15, v11, vcc_lo
	v_cndmask_b32_e32 v11, v11, v15, vcc_lo
	s_delay_alu instid0(VALU_DEP_2) | instskip(NEXT) | instid1(VALU_DEP_2)
	;; [unrolled: 17-line block ×4, first 2 shown]
	v_cvt_f32_u32_e32 v12, v12
	v_cvt_f32_u32_e32 v11, v11
	ds_store_2addr_b32 v1, v12, v11 offset0:128 offset1:130
	s_wait_loadcnt_dscnt 0x0
	s_barrier_signal -1
	s_barrier_wait -1
	global_inv scope:SCOPE_SE
	ds_load_b64 v[11:12], v0 offset:13824
	s_wait_dscnt 0x0
	v_cvt_u32_f32_e32 v11, v11
	v_cvt_u32_f32_e32 v12, v12
	s_delay_alu instid0(VALU_DEP_1) | instskip(SKIP_2) | instid1(VALU_DEP_2)
	v_max_u32_e32 v15, v11, v12
	v_min_u32_e32 v11, v11, v12
	v_and_b32_e32 v12, 63, v6
	v_cndmask_b32_e32 v16, v15, v11, vcc_lo
	v_cndmask_b32_e32 v15, v11, v15, vcc_lo
	s_delay_alu instid0(VALU_DEP_3) | instskip(NEXT) | instid1(VALU_DEP_3)
	v_sub_nc_u32_e32 v17, v8, v12
	v_cvt_f32_u32_e32 v11, v16
	s_delay_alu instid0(VALU_DEP_3) | instskip(NEXT) | instid1(VALU_DEP_3)
	v_cvt_f32_u32_e32 v12, v15
	v_lshlrev_b32_e32 v15, 2, v17
	v_and_b32_e32 v16, 64, v6
	ds_store_b64 v0, v[11:12] offset:13824
	s_wait_loadcnt_dscnt 0x0
	s_barrier_signal -1
	s_barrier_wait -1
	global_inv scope:SCOPE_SE
	ds_load_2addr_stride64_b32 v[11:12], v15 offset0:54 offset1:55
	v_cmp_eq_u32_e32 vcc_lo, 0, v16
	s_wait_dscnt 0x0
	v_cvt_u32_f32_e32 v11, v11
	v_cvt_u32_f32_e32 v12, v12
	s_delay_alu instid0(VALU_DEP_1) | instskip(SKIP_2) | instid1(VALU_DEP_1)
	v_max_u32_e32 v17, v11, v12
	v_min_u32_e32 v11, v11, v12
	s_wait_alu 0xfffd
	v_dual_cndmask_b32 v12, v17, v11 :: v_dual_cndmask_b32 v11, v11, v17
	s_delay_alu instid0(VALU_DEP_1) | instskip(NEXT) | instid1(VALU_DEP_2)
	v_cvt_f32_u32_e32 v12, v12
	v_cvt_f32_u32_e32 v11, v11
	ds_store_2addr_stride64_b32 v15, v12, v11 offset0:54 offset1:55
	s_wait_loadcnt_dscnt 0x0
	s_barrier_signal -1
	s_barrier_wait -1
	global_inv scope:SCOPE_SE
	ds_load_2addr_b32 v[11:12], v14 offset0:128 offset1:160
	s_wait_dscnt 0x0
	v_cvt_u32_f32_e32 v11, v11
	v_cvt_u32_f32_e32 v12, v12
	s_delay_alu instid0(VALU_DEP_1) | instskip(SKIP_1) | instid1(VALU_DEP_1)
	v_max_u32_e32 v16, v11, v12
	v_min_u32_e32 v11, v11, v12
	v_dual_cndmask_b32 v12, v16, v11 :: v_dual_cndmask_b32 v11, v11, v16
	s_delay_alu instid0(VALU_DEP_1) | instskip(NEXT) | instid1(VALU_DEP_2)
	v_cvt_f32_u32_e32 v12, v12
	v_cvt_f32_u32_e32 v11, v11
	ds_store_2addr_b32 v14, v12, v11 offset0:128 offset1:160
	s_wait_loadcnt_dscnt 0x0
	s_barrier_signal -1
	s_barrier_wait -1
	global_inv scope:SCOPE_SE
	ds_load_2addr_b32 v[11:12], v13 offset0:128 offset1:144
	s_wait_dscnt 0x0
	v_cvt_u32_f32_e32 v11, v11
	v_cvt_u32_f32_e32 v12, v12
	s_delay_alu instid0(VALU_DEP_1) | instskip(SKIP_1) | instid1(VALU_DEP_1)
	v_max_u32_e32 v16, v11, v12
	v_min_u32_e32 v11, v11, v12
	v_dual_cndmask_b32 v12, v16, v11 :: v_dual_cndmask_b32 v11, v11, v16
	s_delay_alu instid0(VALU_DEP_1) | instskip(NEXT) | instid1(VALU_DEP_2)
	v_cvt_f32_u32_e32 v12, v12
	v_cvt_f32_u32_e32 v11, v11
	ds_store_2addr_b32 v13, v12, v11 offset0:128 offset1:144
	;; [unrolled: 16-line block ×5, first 2 shown]
	s_wait_loadcnt_dscnt 0x0
	s_barrier_signal -1
	s_barrier_wait -1
	global_inv scope:SCOPE_SE
	ds_load_b64 v[11:12], v0 offset:13824
	s_wait_dscnt 0x0
	v_cvt_u32_f32_e32 v11, v11
	v_cvt_u32_f32_e32 v12, v12
	s_delay_alu instid0(VALU_DEP_1) | instskip(SKIP_1) | instid1(VALU_DEP_1)
	v_max_u32_e32 v16, v11, v12
	v_min_u32_e32 v11, v11, v12
	v_dual_cndmask_b32 v17, v16, v11 :: v_dual_and_b32 v12, 0x7f, v6
	v_cndmask_b32_e32 v16, v11, v16, vcc_lo
	s_delay_alu instid0(VALU_DEP_2) | instskip(NEXT) | instid1(VALU_DEP_3)
	v_sub_nc_u32_e32 v8, v8, v12
	v_cvt_f32_u32_e32 v11, v17
	s_delay_alu instid0(VALU_DEP_3) | instskip(NEXT) | instid1(VALU_DEP_3)
	v_cvt_f32_u32_e32 v12, v16
	v_lshlrev_b32_e32 v8, 2, v8
	ds_store_b64 v0, v[11:12] offset:13824
	s_wait_loadcnt_dscnt 0x0
	s_barrier_signal -1
	s_barrier_wait -1
	global_inv scope:SCOPE_SE
	ds_load_2addr_stride64_b32 v[11:12], v8 offset0:54 offset1:56
	s_wait_dscnt 0x0
	v_cvt_u32_f32_e32 v11, v11
	v_cvt_u32_f32_e32 v12, v12
	s_delay_alu instid0(VALU_DEP_1) | instskip(SKIP_1) | instid1(VALU_DEP_2)
	v_min_u32_e32 v16, v11, v12
	v_max_u32_e32 v11, v11, v12
	v_cvt_f32_u32_e32 v12, v16
	s_delay_alu instid0(VALU_DEP_2)
	v_cvt_f32_u32_e32 v11, v11
	ds_store_2addr_stride64_b32 v8, v12, v11 offset0:54 offset1:56
	s_wait_loadcnt_dscnt 0x0
	s_barrier_signal -1
	s_barrier_wait -1
	global_inv scope:SCOPE_SE
	ds_load_2addr_stride64_b32 v[11:12], v15 offset0:54 offset1:55
	s_wait_dscnt 0x0
	v_cvt_u32_f32_e32 v8, v11
	v_cvt_u32_f32_e32 v11, v12
	s_delay_alu instid0(VALU_DEP_1) | instskip(SKIP_1) | instid1(VALU_DEP_2)
	v_min_u32_e32 v12, v8, v11
	v_max_u32_e32 v8, v8, v11
	v_cvt_f32_u32_e32 v11, v12
	s_delay_alu instid0(VALU_DEP_2)
	v_cvt_f32_u32_e32 v8, v8
	ds_store_2addr_stride64_b32 v15, v11, v8 offset0:54 offset1:55
	s_wait_loadcnt_dscnt 0x0
	s_barrier_signal -1
	s_barrier_wait -1
	global_inv scope:SCOPE_SE
	ds_load_2addr_b32 v[11:12], v14 offset0:128 offset1:160
	s_wait_dscnt 0x0
	v_cvt_u32_f32_e32 v8, v11
	v_cvt_u32_f32_e32 v11, v12
	s_delay_alu instid0(VALU_DEP_1) | instskip(SKIP_1) | instid1(VALU_DEP_2)
	v_min_u32_e32 v12, v8, v11
	v_max_u32_e32 v8, v8, v11
	v_cvt_f32_u32_e32 v11, v12
	s_delay_alu instid0(VALU_DEP_2)
	v_cvt_f32_u32_e32 v8, v8
	ds_store_2addr_b32 v14, v11, v8 offset0:128 offset1:160
	s_wait_loadcnt_dscnt 0x0
	s_barrier_signal -1
	s_barrier_wait -1
	global_inv scope:SCOPE_SE
	ds_load_2addr_b32 v[11:12], v13 offset0:128 offset1:144
	s_wait_dscnt 0x0
	v_cvt_u32_f32_e32 v8, v11
	v_cvt_u32_f32_e32 v11, v12
	s_delay_alu instid0(VALU_DEP_1) | instskip(SKIP_1) | instid1(VALU_DEP_2)
	v_min_u32_e32 v12, v8, v11
	v_max_u32_e32 v8, v8, v11
	v_cvt_f32_u32_e32 v11, v12
	s_delay_alu instid0(VALU_DEP_2)
	v_cvt_f32_u32_e32 v8, v8
	ds_store_2addr_b32 v13, v11, v8 offset0:128 offset1:144
	;; [unrolled: 15-line block ×5, first 2 shown]
	s_wait_loadcnt_dscnt 0x0
	s_barrier_signal -1
	s_barrier_wait -1
	global_inv scope:SCOPE_SE
	ds_load_b64 v[7:8], v0 offset:13824
	s_wait_dscnt 0x0
	v_cvt_u32_f32_e32 v1, v7
	v_cvt_u32_f32_e32 v7, v8
	s_delay_alu instid0(VALU_DEP_1) | instskip(SKIP_1) | instid1(VALU_DEP_2)
	v_min_u32_e32 v8, v1, v7
	v_max_u32_e32 v1, v1, v7
	v_cvt_f32_u32_e32 v7, v8
	s_delay_alu instid0(VALU_DEP_2)
	v_cvt_f32_u32_e32 v8, v1
	ds_store_b64 v0, v[7:8] offset:13824
	s_wait_loadcnt_dscnt 0x0
	s_barrier_signal -1
	s_barrier_wait -1
	global_inv scope:SCOPE_SE
	v_cmpx_lt_u32_e64 v6, v5
	s_cbranch_execz .LBB4_16
; %bb.14:
	v_mov_b32_e32 v1, 0
.LBB4_15:                               ; =>This Inner Loop Header: Depth=1
	ds_load_b32 v10, v9
	v_add_nc_u32_e32 v0, v4, v6
	v_add_nc_u32_e32 v6, 0x80, v6
	;; [unrolled: 1-line block ×3, first 2 shown]
	s_delay_alu instid0(VALU_DEP_3) | instskip(NEXT) | instid1(VALU_DEP_3)
	v_lshlrev_b64_e32 v[7:8], 2, v[0:1]
	v_cmp_ge_u32_e32 vcc_lo, v6, v5
	s_wait_alu 0xfffe
	s_or_b32 s3, vcc_lo, s3
	s_delay_alu instid0(VALU_DEP_2)
	v_add_co_u32 v7, s0, v2, v7
	s_wait_alu 0xf1ff
	v_add_co_ci_u32_e64 v8, null, v3, v8, s0
	s_wait_dscnt 0x0
	flat_store_b32 v[7:8], v10
	s_wait_alu 0xfffe
	s_and_not1_b32 exec_lo, exec_lo, s3
	s_cbranch_execnz .LBB4_15
.LBB4_16:
	s_wait_alu 0xfffe
	s_or_b32 exec_lo, exec_lo, s4
.LBB4_17:
	s_wait_alu 0xfffe
	s_or_b32 exec_lo, exec_lo, s2
                                        ; implicit-def: $vgpr4
                                        ; implicit-def: $vgpr0
                                        ; implicit-def: $vgpr1
                                        ; implicit-def: $vgpr6
                                        ; implicit-def: $vgpr2
                                        ; implicit-def: $vgpr3
	s_and_not1_saveexec_b32 s1, s1
	s_cbranch_execz .LBB4_2
.LBB4_18:
	v_dual_mov_b32 v8, 0 :: v_dual_lshlrev_b32 v7, 1, v6
	v_and_b32_e32 v15, 1, v6
	s_mov_b32 s2, 0
	s_mov_b32 s3, exec_lo
	s_delay_alu instid0(VALU_DEP_2) | instskip(SKIP_2) | instid1(VALU_DEP_3)
	v_dual_mov_b32 v5, v8 :: v_dual_mov_b32 v14, v8
	v_lshlrev_b64_e32 v[11:12], 2, v[7:8]
	v_sub_nc_u32_e32 v13, v7, v15
	v_lshlrev_b64_e32 v[9:10], 2, v[4:5]
	s_delay_alu instid0(VALU_DEP_1) | instskip(SKIP_1) | instid1(VALU_DEP_2)
	v_add_co_u32 v5, vcc_lo, v0, v9
	s_wait_alu 0xfffd
	v_add_co_ci_u32_e64 v27, null, v1, v10, vcc_lo
	s_delay_alu instid0(VALU_DEP_2) | instskip(SKIP_1) | instid1(VALU_DEP_2)
	v_add_co_u32 v9, vcc_lo, v5, v11
	s_wait_alu 0xfffd
	v_add_co_ci_u32_e64 v10, null, v27, v12, vcc_lo
	v_cmp_eq_u32_e32 vcc_lo, 0, v15
	flat_load_b64 v[11:12], v[9:10]
	s_wait_loadcnt_dscnt 0x0
	v_cvt_u32_f32_e32 v16, v11
	v_cvt_u32_f32_e32 v17, v12
	v_lshlrev_b64_e32 v[11:12], 2, v[13:14]
	v_ashrrev_i32_e32 v14, 31, v13
	s_delay_alu instid0(VALU_DEP_3) | instskip(SKIP_1) | instid1(VALU_DEP_3)
	v_max_u32_e32 v18, v16, v17
	v_min_u32_e32 v16, v16, v17
	v_lshlrev_b64_e32 v[13:14], 2, v[13:14]
	s_wait_alu 0xfffd
	s_delay_alu instid0(VALU_DEP_2)
	v_dual_cndmask_b32 v15, v18, v16 :: v_dual_cndmask_b32 v16, v16, v18
	v_add_co_u32 v11, vcc_lo, v5, v11
	s_wait_alu 0xfffd
	v_add_co_ci_u32_e64 v12, null, v27, v12, vcc_lo
	v_add_co_u32 v13, vcc_lo, v5, v13
	v_cvt_f32_u32_e32 v15, v15
	v_cvt_f32_u32_e32 v16, v16
	s_wait_alu 0xfffd
	v_add_co_ci_u32_e64 v14, null, v27, v14, vcc_lo
	flat_store_b64 v[9:10], v[15:16]
	s_wait_storecnt_dscnt 0x0
	s_barrier_signal -1
	s_barrier_wait -1
	global_inv scope:SCOPE_SE
	s_clause 0x1
	flat_load_b32 v15, v[11:12]
	flat_load_b32 v16, v[13:14] offset:8
	s_wait_loadcnt_dscnt 0x101
	v_cvt_u32_f32_e32 v15, v15
	s_wait_loadcnt_dscnt 0x0
	v_cvt_u32_f32_e32 v16, v16
	s_delay_alu instid0(VALU_DEP_1) | instskip(SKIP_2) | instid1(VALU_DEP_1)
	v_max_u32_e32 v18, v15, v16
	v_min_u32_e32 v15, v15, v16
	v_and_b32_e32 v17, 2, v6
	v_cmp_eq_u32_e32 vcc_lo, 0, v17
	s_wait_alu 0xfffd
	s_delay_alu instid0(VALU_DEP_3) | instskip(SKIP_1) | instid1(VALU_DEP_2)
	v_dual_cndmask_b32 v16, v18, v15 :: v_dual_and_b32 v17, 3, v6
	v_cndmask_b32_e32 v15, v15, v18, vcc_lo
	v_sub_nc_u32_e32 v17, v7, v17
	v_mov_b32_e32 v18, v8
	s_delay_alu instid0(VALU_DEP_4) | instskip(NEXT) | instid1(VALU_DEP_4)
	v_cvt_f32_u32_e32 v16, v16
	v_cvt_f32_u32_e32 v15, v15
	s_clause 0x1
	flat_store_b32 v[11:12], v16
	flat_store_b32 v[13:14], v15 offset:8
	s_wait_storecnt_dscnt 0x0
	s_barrier_signal -1
	s_barrier_wait -1
	global_inv scope:SCOPE_SE
	flat_load_b64 v[15:16], v[9:10]
	s_wait_loadcnt_dscnt 0x0
	v_cvt_u32_f32_e32 v19, v15
	v_cvt_u32_f32_e32 v20, v16
	v_lshlrev_b64_e32 v[15:16], 2, v[17:18]
	v_ashrrev_i32_e32 v18, 31, v17
	s_delay_alu instid0(VALU_DEP_3) | instskip(SKIP_1) | instid1(VALU_DEP_3)
	v_max_u32_e32 v21, v19, v20
	v_min_u32_e32 v19, v19, v20
	v_lshlrev_b64_e32 v[17:18], 2, v[17:18]
	s_delay_alu instid0(VALU_DEP_2) | instskip(SKIP_3) | instid1(VALU_DEP_4)
	v_dual_cndmask_b32 v20, v21, v19 :: v_dual_cndmask_b32 v21, v19, v21
	v_add_co_u32 v15, vcc_lo, v5, v15
	s_wait_alu 0xfffd
	v_add_co_ci_u32_e64 v16, null, v27, v16, vcc_lo
	v_add_co_u32 v17, vcc_lo, v5, v17
	v_cvt_f32_u32_e32 v19, v20
	v_cvt_f32_u32_e32 v20, v21
	s_wait_alu 0xfffd
	v_add_co_ci_u32_e64 v18, null, v27, v18, vcc_lo
	v_and_b32_e32 v21, 4, v6
	flat_store_b64 v[9:10], v[19:20]
	s_wait_storecnt_dscnt 0x0
	s_barrier_signal -1
	s_barrier_wait -1
	global_inv scope:SCOPE_SE
	s_clause 0x1
	flat_load_b32 v19, v[15:16]
	flat_load_b32 v20, v[17:18] offset:16
	v_cmp_eq_u32_e32 vcc_lo, 0, v21
	s_wait_loadcnt_dscnt 0x101
	v_cvt_u32_f32_e32 v19, v19
	s_wait_loadcnt_dscnt 0x0
	v_cvt_u32_f32_e32 v20, v20
	s_delay_alu instid0(VALU_DEP_1) | instskip(SKIP_2) | instid1(VALU_DEP_1)
	v_max_u32_e32 v22, v19, v20
	v_min_u32_e32 v19, v19, v20
	s_wait_alu 0xfffd
	v_dual_cndmask_b32 v20, v22, v19 :: v_dual_cndmask_b32 v19, v19, v22
	v_mov_b32_e32 v22, v8
	s_delay_alu instid0(VALU_DEP_2) | instskip(NEXT) | instid1(VALU_DEP_3)
	v_cvt_f32_u32_e32 v20, v20
	v_cvt_f32_u32_e32 v19, v19
	s_clause 0x1
	flat_store_b32 v[15:16], v20
	flat_store_b32 v[17:18], v19 offset:16
	s_wait_storecnt_dscnt 0x0
	s_barrier_signal -1
	s_barrier_wait -1
	global_inv scope:SCOPE_SE
	s_clause 0x1
	flat_load_b32 v19, v[11:12]
	flat_load_b32 v20, v[13:14] offset:8
	s_wait_loadcnt_dscnt 0x101
	v_cvt_u32_f32_e32 v19, v19
	s_wait_loadcnt_dscnt 0x0
	v_cvt_u32_f32_e32 v20, v20
	s_delay_alu instid0(VALU_DEP_1) | instskip(SKIP_1) | instid1(VALU_DEP_1)
	v_max_u32_e32 v21, v19, v20
	v_min_u32_e32 v19, v19, v20
	v_dual_cndmask_b32 v20, v21, v19 :: v_dual_cndmask_b32 v19, v19, v21
	v_and_b32_e32 v21, 7, v6
	s_delay_alu instid0(VALU_DEP_2) | instskip(NEXT) | instid1(VALU_DEP_3)
	v_cvt_f32_u32_e32 v20, v20
	v_cvt_f32_u32_e32 v19, v19
	s_clause 0x1
	flat_store_b32 v[11:12], v20
	flat_store_b32 v[13:14], v19 offset:8
	s_wait_storecnt_dscnt 0x0
	s_barrier_signal -1
	s_barrier_wait -1
	global_inv scope:SCOPE_SE
	flat_load_b64 v[19:20], v[9:10]
	v_sub_nc_u32_e32 v21, v7, v21
	s_wait_loadcnt_dscnt 0x0
	v_cvt_u32_f32_e32 v23, v19
	v_cvt_u32_f32_e32 v24, v20
	s_delay_alu instid0(VALU_DEP_3) | instskip(SKIP_1) | instid1(VALU_DEP_3)
	v_lshlrev_b64_e32 v[19:20], 2, v[21:22]
	v_ashrrev_i32_e32 v22, 31, v21
	v_max_u32_e32 v25, v23, v24
	v_min_u32_e32 v23, v23, v24
	s_delay_alu instid0(VALU_DEP_3) | instskip(NEXT) | instid1(VALU_DEP_2)
	v_lshlrev_b64_e32 v[21:22], 2, v[21:22]
	v_dual_cndmask_b32 v24, v25, v23 :: v_dual_cndmask_b32 v25, v23, v25
	v_add_co_u32 v19, vcc_lo, v5, v19
	s_wait_alu 0xfffd
	v_add_co_ci_u32_e64 v20, null, v27, v20, vcc_lo
	s_delay_alu instid0(VALU_DEP_4)
	v_add_co_u32 v21, vcc_lo, v5, v21
	v_cvt_f32_u32_e32 v23, v24
	v_cvt_f32_u32_e32 v24, v25
	s_wait_alu 0xfffd
	v_add_co_ci_u32_e64 v22, null, v27, v22, vcc_lo
	v_and_b32_e32 v25, 8, v6
	flat_store_b64 v[9:10], v[23:24]
	s_wait_storecnt_dscnt 0x0
	s_barrier_signal -1
	s_barrier_wait -1
	global_inv scope:SCOPE_SE
	s_clause 0x1
	flat_load_b32 v23, v[19:20]
	flat_load_b32 v24, v[21:22] offset:32
	v_cmp_eq_u32_e32 vcc_lo, 0, v25
	s_wait_loadcnt_dscnt 0x101
	v_cvt_u32_f32_e32 v23, v23
	s_wait_loadcnt_dscnt 0x0
	v_cvt_u32_f32_e32 v24, v24
	s_delay_alu instid0(VALU_DEP_1) | instskip(SKIP_2) | instid1(VALU_DEP_1)
	v_max_u32_e32 v26, v23, v24
	v_min_u32_e32 v23, v23, v24
	s_wait_alu 0xfffd
	v_dual_cndmask_b32 v24, v26, v23 :: v_dual_cndmask_b32 v23, v23, v26
	v_mov_b32_e32 v26, v8
	s_delay_alu instid0(VALU_DEP_2) | instskip(NEXT) | instid1(VALU_DEP_3)
	v_cvt_f32_u32_e32 v24, v24
	v_cvt_f32_u32_e32 v23, v23
	s_clause 0x1
	flat_store_b32 v[19:20], v24
	flat_store_b32 v[21:22], v23 offset:32
	s_wait_storecnt_dscnt 0x0
	s_barrier_signal -1
	s_barrier_wait -1
	global_inv scope:SCOPE_SE
	s_clause 0x1
	flat_load_b32 v23, v[15:16]
	flat_load_b32 v24, v[17:18] offset:16
	s_wait_loadcnt_dscnt 0x101
	v_cvt_u32_f32_e32 v23, v23
	s_wait_loadcnt_dscnt 0x0
	v_cvt_u32_f32_e32 v24, v24
	s_delay_alu instid0(VALU_DEP_1) | instskip(SKIP_1) | instid1(VALU_DEP_1)
	v_max_u32_e32 v25, v23, v24
	v_min_u32_e32 v23, v23, v24
	v_dual_cndmask_b32 v24, v25, v23 :: v_dual_cndmask_b32 v23, v23, v25
	s_delay_alu instid0(VALU_DEP_1) | instskip(NEXT) | instid1(VALU_DEP_2)
	v_cvt_f32_u32_e32 v24, v24
	v_cvt_f32_u32_e32 v23, v23
	s_clause 0x1
	flat_store_b32 v[15:16], v24
	flat_store_b32 v[17:18], v23 offset:16
	s_wait_storecnt_dscnt 0x0
	s_barrier_signal -1
	s_barrier_wait -1
	global_inv scope:SCOPE_SE
	s_clause 0x1
	flat_load_b32 v23, v[11:12]
	flat_load_b32 v24, v[13:14] offset:8
	s_wait_loadcnt_dscnt 0x101
	v_cvt_u32_f32_e32 v23, v23
	s_wait_loadcnt_dscnt 0x0
	v_cvt_u32_f32_e32 v24, v24
	s_delay_alu instid0(VALU_DEP_1) | instskip(SKIP_1) | instid1(VALU_DEP_1)
	v_max_u32_e32 v25, v23, v24
	v_min_u32_e32 v23, v23, v24
	v_dual_cndmask_b32 v24, v25, v23 :: v_dual_cndmask_b32 v23, v23, v25
	v_and_b32_e32 v25, 15, v6
	s_delay_alu instid0(VALU_DEP_2) | instskip(NEXT) | instid1(VALU_DEP_3)
	v_cvt_f32_u32_e32 v24, v24
	v_cvt_f32_u32_e32 v23, v23
	s_clause 0x1
	flat_store_b32 v[11:12], v24
	flat_store_b32 v[13:14], v23 offset:8
	s_wait_storecnt_dscnt 0x0
	s_barrier_signal -1
	s_barrier_wait -1
	global_inv scope:SCOPE_SE
	flat_load_b64 v[23:24], v[9:10]
	v_sub_nc_u32_e32 v25, v7, v25
	s_wait_loadcnt_dscnt 0x0
	v_cvt_u32_f32_e32 v28, v23
	v_cvt_u32_f32_e32 v29, v24
	s_delay_alu instid0(VALU_DEP_3) | instskip(SKIP_1) | instid1(VALU_DEP_3)
	v_lshlrev_b64_e32 v[23:24], 2, v[25:26]
	v_ashrrev_i32_e32 v26, 31, v25
	v_max_u32_e32 v30, v28, v29
	v_min_u32_e32 v28, v28, v29
	s_delay_alu instid0(VALU_DEP_3) | instskip(NEXT) | instid1(VALU_DEP_2)
	v_lshlrev_b64_e32 v[25:26], 2, v[25:26]
	v_dual_cndmask_b32 v29, v30, v28 :: v_dual_cndmask_b32 v30, v28, v30
	v_add_co_u32 v23, vcc_lo, v5, v23
	s_wait_alu 0xfffd
	v_add_co_ci_u32_e64 v24, null, v27, v24, vcc_lo
	s_delay_alu instid0(VALU_DEP_4)
	v_add_co_u32 v25, vcc_lo, v5, v25
	v_cvt_f32_u32_e32 v28, v29
	v_cvt_f32_u32_e32 v29, v30
	s_wait_alu 0xfffd
	v_add_co_ci_u32_e64 v26, null, v27, v26, vcc_lo
	v_and_b32_e32 v30, 16, v6
	flat_store_b64 v[9:10], v[28:29]
	s_wait_storecnt_dscnt 0x0
	s_barrier_signal -1
	s_barrier_wait -1
	global_inv scope:SCOPE_SE
	s_clause 0x1
	flat_load_b32 v28, v[23:24]
	flat_load_b32 v29, v[25:26] offset:64
	v_cmp_eq_u32_e32 vcc_lo, 0, v30
	s_wait_loadcnt_dscnt 0x101
	v_cvt_u32_f32_e32 v28, v28
	s_wait_loadcnt_dscnt 0x0
	v_cvt_u32_f32_e32 v29, v29
	s_delay_alu instid0(VALU_DEP_1) | instskip(SKIP_2) | instid1(VALU_DEP_1)
	v_max_u32_e32 v31, v28, v29
	v_min_u32_e32 v28, v28, v29
	s_wait_alu 0xfffd
	v_dual_cndmask_b32 v29, v31, v28 :: v_dual_cndmask_b32 v28, v28, v31
	v_mov_b32_e32 v31, v8
	s_delay_alu instid0(VALU_DEP_2) | instskip(NEXT) | instid1(VALU_DEP_3)
	v_cvt_f32_u32_e32 v29, v29
	v_cvt_f32_u32_e32 v28, v28
	s_clause 0x1
	flat_store_b32 v[23:24], v29
	flat_store_b32 v[25:26], v28 offset:64
	s_wait_storecnt_dscnt 0x0
	s_barrier_signal -1
	s_barrier_wait -1
	global_inv scope:SCOPE_SE
	s_clause 0x1
	flat_load_b32 v28, v[19:20]
	flat_load_b32 v29, v[21:22] offset:32
	s_wait_loadcnt_dscnt 0x101
	v_cvt_u32_f32_e32 v28, v28
	s_wait_loadcnt_dscnt 0x0
	v_cvt_u32_f32_e32 v29, v29
	s_delay_alu instid0(VALU_DEP_1) | instskip(SKIP_1) | instid1(VALU_DEP_1)
	v_max_u32_e32 v30, v28, v29
	v_min_u32_e32 v28, v28, v29
	v_dual_cndmask_b32 v29, v30, v28 :: v_dual_cndmask_b32 v28, v28, v30
	s_delay_alu instid0(VALU_DEP_1) | instskip(NEXT) | instid1(VALU_DEP_2)
	v_cvt_f32_u32_e32 v29, v29
	v_cvt_f32_u32_e32 v28, v28
	s_clause 0x1
	flat_store_b32 v[19:20], v29
	flat_store_b32 v[21:22], v28 offset:32
	s_wait_storecnt_dscnt 0x0
	s_barrier_signal -1
	s_barrier_wait -1
	global_inv scope:SCOPE_SE
	s_clause 0x1
	flat_load_b32 v28, v[15:16]
	flat_load_b32 v29, v[17:18] offset:16
	s_wait_loadcnt_dscnt 0x101
	v_cvt_u32_f32_e32 v28, v28
	s_wait_loadcnt_dscnt 0x0
	v_cvt_u32_f32_e32 v29, v29
	s_delay_alu instid0(VALU_DEP_1) | instskip(SKIP_1) | instid1(VALU_DEP_1)
	v_max_u32_e32 v30, v28, v29
	v_min_u32_e32 v28, v28, v29
	v_dual_cndmask_b32 v29, v30, v28 :: v_dual_cndmask_b32 v28, v28, v30
	s_delay_alu instid0(VALU_DEP_1) | instskip(NEXT) | instid1(VALU_DEP_2)
	v_cvt_f32_u32_e32 v29, v29
	v_cvt_f32_u32_e32 v28, v28
	s_clause 0x1
	flat_store_b32 v[15:16], v29
	flat_store_b32 v[17:18], v28 offset:16
	s_wait_storecnt_dscnt 0x0
	s_barrier_signal -1
	s_barrier_wait -1
	global_inv scope:SCOPE_SE
	s_clause 0x1
	flat_load_b32 v28, v[11:12]
	flat_load_b32 v29, v[13:14] offset:8
	s_wait_loadcnt_dscnt 0x101
	v_cvt_u32_f32_e32 v28, v28
	s_wait_loadcnt_dscnt 0x0
	v_cvt_u32_f32_e32 v29, v29
	s_delay_alu instid0(VALU_DEP_1) | instskip(SKIP_1) | instid1(VALU_DEP_1)
	v_max_u32_e32 v30, v28, v29
	v_min_u32_e32 v28, v28, v29
	v_dual_cndmask_b32 v29, v30, v28 :: v_dual_cndmask_b32 v28, v28, v30
	v_and_b32_e32 v30, 31, v6
	s_delay_alu instid0(VALU_DEP_2) | instskip(NEXT) | instid1(VALU_DEP_3)
	v_cvt_f32_u32_e32 v29, v29
	v_cvt_f32_u32_e32 v28, v28
	s_clause 0x1
	flat_store_b32 v[11:12], v29
	flat_store_b32 v[13:14], v28 offset:8
	s_wait_storecnt_dscnt 0x0
	s_barrier_signal -1
	s_barrier_wait -1
	global_inv scope:SCOPE_SE
	flat_load_b64 v[28:29], v[9:10]
	v_sub_nc_u32_e32 v30, v7, v30
	s_wait_loadcnt_dscnt 0x0
	v_cvt_u32_f32_e32 v32, v28
	v_cvt_u32_f32_e32 v33, v29
	s_delay_alu instid0(VALU_DEP_1) | instskip(SKIP_1) | instid1(VALU_DEP_1)
	v_max_u32_e32 v34, v32, v33
	v_min_u32_e32 v32, v32, v33
	v_dual_cndmask_b32 v33, v34, v32 :: v_dual_cndmask_b32 v34, v32, v34
	s_delay_alu instid0(VALU_DEP_1) | instskip(NEXT) | instid1(VALU_DEP_2)
	v_cvt_f32_u32_e32 v32, v33
	v_cvt_f32_u32_e32 v33, v34
	v_and_b32_e32 v34, 32, v6
	v_lshlrev_b64_e32 v[28:29], 2, v[30:31]
	v_ashrrev_i32_e32 v31, 31, v30
	flat_store_b64 v[9:10], v[32:33]
	s_wait_storecnt_dscnt 0x0
	s_barrier_signal -1
	v_lshlrev_b64_e32 v[30:31], 2, v[30:31]
	v_add_co_u32 v28, vcc_lo, v5, v28
	s_wait_alu 0xfffd
	v_add_co_ci_u32_e64 v29, null, v27, v29, vcc_lo
	s_barrier_wait -1
	s_delay_alu instid0(VALU_DEP_3)
	v_add_co_u32 v30, vcc_lo, v5, v30
	s_wait_alu 0xfffd
	v_add_co_ci_u32_e64 v31, null, v27, v31, vcc_lo
	global_inv scope:SCOPE_SE
	s_clause 0x1
	flat_load_b32 v32, v[28:29]
	flat_load_b32 v33, v[30:31] offset:128
	v_cmp_eq_u32_e32 vcc_lo, 0, v34
	s_wait_loadcnt_dscnt 0x101
	v_cvt_u32_f32_e32 v32, v32
	s_wait_loadcnt_dscnt 0x0
	v_cvt_u32_f32_e32 v33, v33
	s_delay_alu instid0(VALU_DEP_1) | instskip(SKIP_2) | instid1(VALU_DEP_1)
	v_max_u32_e32 v35, v32, v33
	v_min_u32_e32 v32, v32, v33
	s_wait_alu 0xfffd
	v_dual_cndmask_b32 v33, v35, v32 :: v_dual_cndmask_b32 v32, v32, v35
	v_mov_b32_e32 v35, v8
	s_delay_alu instid0(VALU_DEP_2) | instskip(NEXT) | instid1(VALU_DEP_3)
	v_cvt_f32_u32_e32 v33, v33
	v_cvt_f32_u32_e32 v32, v32
	s_clause 0x1
	flat_store_b32 v[28:29], v33
	flat_store_b32 v[30:31], v32 offset:128
	s_wait_storecnt_dscnt 0x0
	s_barrier_signal -1
	s_barrier_wait -1
	global_inv scope:SCOPE_SE
	s_clause 0x1
	flat_load_b32 v32, v[23:24]
	flat_load_b32 v33, v[25:26] offset:64
	s_wait_loadcnt_dscnt 0x101
	v_cvt_u32_f32_e32 v32, v32
	s_wait_loadcnt_dscnt 0x0
	v_cvt_u32_f32_e32 v33, v33
	s_delay_alu instid0(VALU_DEP_1) | instskip(SKIP_1) | instid1(VALU_DEP_1)
	v_max_u32_e32 v34, v32, v33
	v_min_u32_e32 v32, v32, v33
	v_dual_cndmask_b32 v33, v34, v32 :: v_dual_cndmask_b32 v32, v32, v34
	s_delay_alu instid0(VALU_DEP_1) | instskip(NEXT) | instid1(VALU_DEP_2)
	v_cvt_f32_u32_e32 v33, v33
	v_cvt_f32_u32_e32 v32, v32
	s_clause 0x1
	flat_store_b32 v[23:24], v33
	flat_store_b32 v[25:26], v32 offset:64
	s_wait_storecnt_dscnt 0x0
	s_barrier_signal -1
	s_barrier_wait -1
	global_inv scope:SCOPE_SE
	s_clause 0x1
	flat_load_b32 v32, v[19:20]
	flat_load_b32 v33, v[21:22] offset:32
	s_wait_loadcnt_dscnt 0x101
	v_cvt_u32_f32_e32 v32, v32
	s_wait_loadcnt_dscnt 0x0
	v_cvt_u32_f32_e32 v33, v33
	s_delay_alu instid0(VALU_DEP_1) | instskip(SKIP_1) | instid1(VALU_DEP_1)
	v_max_u32_e32 v34, v32, v33
	v_min_u32_e32 v32, v32, v33
	v_dual_cndmask_b32 v33, v34, v32 :: v_dual_cndmask_b32 v32, v32, v34
	s_delay_alu instid0(VALU_DEP_1) | instskip(NEXT) | instid1(VALU_DEP_2)
	;; [unrolled: 21-line block ×3, first 2 shown]
	v_cvt_f32_u32_e32 v33, v33
	v_cvt_f32_u32_e32 v32, v32
	s_clause 0x1
	flat_store_b32 v[15:16], v33
	flat_store_b32 v[17:18], v32 offset:16
	s_wait_storecnt_dscnt 0x0
	s_barrier_signal -1
	s_barrier_wait -1
	global_inv scope:SCOPE_SE
	s_clause 0x1
	flat_load_b32 v32, v[11:12]
	flat_load_b32 v33, v[13:14] offset:8
	s_wait_loadcnt_dscnt 0x101
	v_cvt_u32_f32_e32 v32, v32
	s_wait_loadcnt_dscnt 0x0
	v_cvt_u32_f32_e32 v33, v33
	s_delay_alu instid0(VALU_DEP_1) | instskip(SKIP_1) | instid1(VALU_DEP_1)
	v_max_u32_e32 v34, v32, v33
	v_min_u32_e32 v32, v32, v33
	v_dual_cndmask_b32 v33, v34, v32 :: v_dual_cndmask_b32 v32, v32, v34
	v_and_b32_e32 v34, 63, v6
	s_delay_alu instid0(VALU_DEP_2) | instskip(NEXT) | instid1(VALU_DEP_3)
	v_cvt_f32_u32_e32 v33, v33
	v_cvt_f32_u32_e32 v32, v32
	s_clause 0x1
	flat_store_b32 v[11:12], v33
	flat_store_b32 v[13:14], v32 offset:8
	s_wait_storecnt_dscnt 0x0
	s_barrier_signal -1
	s_barrier_wait -1
	global_inv scope:SCOPE_SE
	flat_load_b64 v[32:33], v[9:10]
	v_sub_nc_u32_e32 v34, v7, v34
	s_wait_loadcnt_dscnt 0x0
	v_cvt_u32_f32_e32 v36, v32
	v_cvt_u32_f32_e32 v37, v33
	s_delay_alu instid0(VALU_DEP_1) | instskip(SKIP_1) | instid1(VALU_DEP_1)
	v_max_u32_e32 v38, v36, v37
	v_min_u32_e32 v36, v36, v37
	v_dual_cndmask_b32 v37, v38, v36 :: v_dual_cndmask_b32 v38, v36, v38
	s_delay_alu instid0(VALU_DEP_1) | instskip(NEXT) | instid1(VALU_DEP_2)
	v_cvt_f32_u32_e32 v36, v37
	v_cvt_f32_u32_e32 v37, v38
	v_and_b32_e32 v38, 64, v6
	v_lshlrev_b64_e32 v[32:33], 2, v[34:35]
	v_ashrrev_i32_e32 v35, 31, v34
	flat_store_b64 v[9:10], v[36:37]
	s_wait_storecnt_dscnt 0x0
	s_barrier_signal -1
	v_lshlrev_b64_e32 v[34:35], 2, v[34:35]
	v_add_co_u32 v32, vcc_lo, v5, v32
	s_wait_alu 0xfffd
	v_add_co_ci_u32_e64 v33, null, v27, v33, vcc_lo
	s_barrier_wait -1
	s_delay_alu instid0(VALU_DEP_3)
	v_add_co_u32 v34, vcc_lo, v5, v34
	s_wait_alu 0xfffd
	v_add_co_ci_u32_e64 v35, null, v27, v35, vcc_lo
	global_inv scope:SCOPE_SE
	s_clause 0x1
	flat_load_b32 v36, v[32:33]
	flat_load_b32 v37, v[34:35] offset:256
	v_cmp_eq_u32_e32 vcc_lo, 0, v38
	s_wait_loadcnt_dscnt 0x101
	v_cvt_u32_f32_e32 v36, v36
	s_wait_loadcnt_dscnt 0x0
	v_cvt_u32_f32_e32 v37, v37
	s_delay_alu instid0(VALU_DEP_1) | instskip(SKIP_2) | instid1(VALU_DEP_1)
	v_max_u32_e32 v39, v36, v37
	v_min_u32_e32 v36, v36, v37
	s_wait_alu 0xfffd
	v_dual_cndmask_b32 v37, v39, v36 :: v_dual_cndmask_b32 v36, v36, v39
	s_delay_alu instid0(VALU_DEP_1) | instskip(NEXT) | instid1(VALU_DEP_2)
	v_cvt_f32_u32_e32 v37, v37
	v_cvt_f32_u32_e32 v36, v36
	s_clause 0x1
	flat_store_b32 v[32:33], v37
	flat_store_b32 v[34:35], v36 offset:256
	s_wait_storecnt_dscnt 0x0
	s_barrier_signal -1
	s_barrier_wait -1
	global_inv scope:SCOPE_SE
	s_clause 0x1
	flat_load_b32 v36, v[28:29]
	flat_load_b32 v37, v[30:31] offset:128
	s_wait_loadcnt_dscnt 0x101
	v_cvt_u32_f32_e32 v36, v36
	s_wait_loadcnt_dscnt 0x0
	v_cvt_u32_f32_e32 v37, v37
	s_delay_alu instid0(VALU_DEP_1) | instskip(SKIP_1) | instid1(VALU_DEP_1)
	v_max_u32_e32 v38, v36, v37
	v_min_u32_e32 v36, v36, v37
	v_dual_cndmask_b32 v37, v38, v36 :: v_dual_cndmask_b32 v36, v36, v38
	s_delay_alu instid0(VALU_DEP_1) | instskip(NEXT) | instid1(VALU_DEP_2)
	v_cvt_f32_u32_e32 v37, v37
	v_cvt_f32_u32_e32 v36, v36
	s_clause 0x1
	flat_store_b32 v[28:29], v37
	flat_store_b32 v[30:31], v36 offset:128
	s_wait_storecnt_dscnt 0x0
	s_barrier_signal -1
	s_barrier_wait -1
	global_inv scope:SCOPE_SE
	s_clause 0x1
	flat_load_b32 v36, v[23:24]
	flat_load_b32 v37, v[25:26] offset:64
	s_wait_loadcnt_dscnt 0x101
	v_cvt_u32_f32_e32 v36, v36
	s_wait_loadcnt_dscnt 0x0
	v_cvt_u32_f32_e32 v37, v37
	s_delay_alu instid0(VALU_DEP_1) | instskip(SKIP_1) | instid1(VALU_DEP_1)
	v_max_u32_e32 v38, v36, v37
	v_min_u32_e32 v36, v36, v37
	;; [unrolled: 21-line block ×5, first 2 shown]
	v_dual_cndmask_b32 v37, v38, v36 :: v_dual_cndmask_b32 v36, v36, v38
	v_and_b32_e32 v38, 0x7f, v6
	s_delay_alu instid0(VALU_DEP_2) | instskip(NEXT) | instid1(VALU_DEP_3)
	v_cvt_f32_u32_e32 v37, v37
	v_cvt_f32_u32_e32 v36, v36
	s_clause 0x1
	flat_store_b32 v[11:12], v37
	flat_store_b32 v[13:14], v36 offset:8
	s_wait_storecnt_dscnt 0x0
	s_barrier_signal -1
	s_barrier_wait -1
	global_inv scope:SCOPE_SE
	flat_load_b64 v[36:37], v[9:10]
	v_sub_nc_u32_e32 v7, v7, v38
	s_wait_loadcnt_dscnt 0x0
	v_cvt_u32_f32_e32 v38, v36
	v_cvt_u32_f32_e32 v39, v37
	s_delay_alu instid0(VALU_DEP_3) | instskip(NEXT) | instid1(VALU_DEP_2)
	v_ashrrev_i32_e32 v37, 31, v7
	v_max_u32_e32 v48, v38, v39
	v_min_u32_e32 v49, v38, v39
	v_mov_b32_e32 v36, v7
	v_lshlrev_b64_e32 v[38:39], 2, v[7:8]
	s_delay_alu instid0(VALU_DEP_3) | instskip(NEXT) | instid1(VALU_DEP_3)
	v_cndmask_b32_e32 v7, v48, v49, vcc_lo
	v_lshlrev_b64_e32 v[36:37], 2, v[36:37]
	v_cndmask_b32_e32 v49, v49, v48, vcc_lo
	s_delay_alu instid0(VALU_DEP_4) | instskip(SKIP_2) | instid1(VALU_DEP_4)
	v_add_co_u32 v38, vcc_lo, v5, v38
	s_wait_alu 0xfffd
	v_add_co_ci_u32_e64 v39, null, v27, v39, vcc_lo
	v_add_co_u32 v36, vcc_lo, v5, v36
	v_cvt_f32_u32_e32 v48, v7
	v_cvt_f32_u32_e32 v49, v49
	s_wait_alu 0xfffd
	v_add_co_ci_u32_e64 v37, null, v27, v37, vcc_lo
	flat_store_b64 v[9:10], v[48:49]
	s_wait_storecnt_dscnt 0x0
	s_barrier_signal -1
	s_barrier_wait -1
	global_inv scope:SCOPE_SE
	s_clause 0x1
	flat_load_b32 v5, v[38:39]
	flat_load_b32 v7, v[36:37] offset:512
	s_wait_loadcnt_dscnt 0x101
	v_cvt_u32_f32_e32 v5, v5
	s_wait_loadcnt_dscnt 0x0
	v_cvt_u32_f32_e32 v7, v7
	s_delay_alu instid0(VALU_DEP_1) | instskip(SKIP_1) | instid1(VALU_DEP_2)
	v_min_u32_e32 v27, v5, v7
	v_max_u32_e32 v5, v5, v7
	v_cvt_f32_u32_e32 v7, v27
	s_delay_alu instid0(VALU_DEP_2)
	v_cvt_f32_u32_e32 v5, v5
	s_clause 0x1
	flat_store_b32 v[38:39], v7
	flat_store_b32 v[36:37], v5 offset:512
	s_wait_storecnt_dscnt 0x0
	s_barrier_signal -1
	s_barrier_wait -1
	global_inv scope:SCOPE_SE
	s_clause 0x1
	flat_load_b32 v5, v[32:33]
	flat_load_b32 v7, v[34:35] offset:256
	s_wait_loadcnt_dscnt 0x101
	v_cvt_u32_f32_e32 v5, v5
	s_wait_loadcnt_dscnt 0x0
	v_cvt_u32_f32_e32 v7, v7
	s_delay_alu instid0(VALU_DEP_1) | instskip(SKIP_1) | instid1(VALU_DEP_2)
	v_min_u32_e32 v27, v5, v7
	v_max_u32_e32 v5, v5, v7
	v_cvt_f32_u32_e32 v7, v27
	s_delay_alu instid0(VALU_DEP_2)
	v_cvt_f32_u32_e32 v5, v5
	s_clause 0x1
	flat_store_b32 v[32:33], v7
	flat_store_b32 v[34:35], v5 offset:256
	;; [unrolled: 20-line block ×7, first 2 shown]
	s_wait_storecnt_dscnt 0x0
	s_barrier_signal -1
	s_barrier_wait -1
	global_inv scope:SCOPE_SE
	flat_load_b64 v[11:12], v[9:10]
	s_wait_loadcnt_dscnt 0x0
	v_cvt_u32_f32_e32 v5, v11
	v_cvt_u32_f32_e32 v7, v12
	s_delay_alu instid0(VALU_DEP_1) | instskip(SKIP_1) | instid1(VALU_DEP_2)
	v_min_u32_e32 v11, v5, v7
	v_max_u32_e32 v5, v5, v7
	v_cvt_f32_u32_e32 v11, v11
	s_delay_alu instid0(VALU_DEP_2)
	v_cvt_f32_u32_e32 v12, v5
	flat_store_b64 v[9:10], v[11:12]
	s_wait_storecnt_dscnt 0x0
	s_barrier_signal -1
	s_barrier_wait -1
	global_inv scope:SCOPE_SE
	v_cmpx_gt_u32_e32 0x100, v6
	s_cbranch_execz .LBB4_20
.LBB4_19:                               ; =>This Inner Loop Header: Depth=1
	v_add_nc_u32_e32 v7, v4, v6
	s_delay_alu instid0(VALU_DEP_1) | instskip(SKIP_1) | instid1(VALU_DEP_2)
	v_lshlrev_b64_e32 v[9:10], 2, v[7:8]
	v_add_nc_u32_e32 v7, 0x80, v6
	v_add_co_u32 v11, vcc_lo, v0, v9
	s_wait_alu 0xfffd
	s_delay_alu instid0(VALU_DEP_3)
	v_add_co_ci_u32_e64 v12, null, v1, v10, vcc_lo
	v_cmp_lt_u32_e32 vcc_lo, 0x7f, v6
	v_add_co_u32 v9, s0, v2, v9
	flat_load_b32 v5, v[11:12]
	s_wait_alu 0xf1ff
	v_add_co_ci_u32_e64 v10, null, v3, v10, s0
	v_mov_b32_e32 v6, v7
	s_wait_alu 0xfffe
	s_or_b32 s2, vcc_lo, s2
	s_wait_loadcnt_dscnt 0x0
	flat_store_b32 v[9:10], v5
	s_wait_alu 0xfffe
	s_and_not1_b32 exec_lo, exec_lo, s2
	s_cbranch_execnz .LBB4_19
.LBB4_20:
	s_wait_alu 0xfffe
	s_or_b32 exec_lo, exec_lo, s3
	s_delay_alu instid0(SALU_CYCLE_1)
	s_or_b32 exec_lo, exec_lo, s1
	s_wait_loadcnt_dscnt 0x0
	s_setpc_b64 s[30:31]
.Lfunc_end4:
	.size	_Z14sort_thresholdIfEvPT_S1_jjS1_j, .Lfunc_end4-_Z14sort_thresholdIfEvPT_S1_jjS1_j
                                        ; -- End function
	.set .L_Z14sort_thresholdIfEvPT_S1_jjS1_j.num_vgpr, 50
	.set .L_Z14sort_thresholdIfEvPT_S1_jjS1_j.num_agpr, 0
	.set .L_Z14sort_thresholdIfEvPT_S1_jjS1_j.numbered_sgpr, 32
	.set .L_Z14sort_thresholdIfEvPT_S1_jjS1_j.num_named_barrier, 0
	.set .L_Z14sort_thresholdIfEvPT_S1_jjS1_j.private_seg_size, 0
	.set .L_Z14sort_thresholdIfEvPT_S1_jjS1_j.uses_vcc, 1
	.set .L_Z14sort_thresholdIfEvPT_S1_jjS1_j.uses_flat_scratch, 1
	.set .L_Z14sort_thresholdIfEvPT_S1_jjS1_j.has_dyn_sized_stack, 0
	.set .L_Z14sort_thresholdIfEvPT_S1_jjS1_j.has_recursion, 0
	.set .L_Z14sort_thresholdIfEvPT_S1_jjS1_j.has_indirect_call, 0
	.section	.AMDGPU.csdata,"",@progbits
; Function info:
; codeLenInByte = 8880
; TotalNumSgprs: 34
; NumVgprs: 50
; ScratchSize: 0
; MemoryBound: 0
	.section	.text._Z13lqsort_kernelIfEvPT_S1_P11work_recordIS0_E,"axG",@progbits,_Z13lqsort_kernelIfEvPT_S1_P11work_recordIS0_E,comdat
	.protected	_Z13lqsort_kernelIfEvPT_S1_P11work_recordIS0_E ; -- Begin function _Z13lqsort_kernelIfEvPT_S1_P11work_recordIS0_E
	.globl	_Z13lqsort_kernelIfEvPT_S1_P11work_recordIS0_E
	.p2align	8
	.type	_Z13lqsort_kernelIfEvPT_S1_P11work_recordIS0_E,@function
_Z13lqsort_kernelIfEvPT_S1_P11work_recordIS0_E: ; @_Z13lqsort_kernelIfEvPT_S1_P11work_recordIS0_E
; %bb.0:
	s_clause 0x1
	s_load_b64 s[4:5], s[0:1], 0x10
	s_load_b128 s[16:19], s[0:1], 0x0
	s_mov_b32 s2, ttmp9
	s_mov_b32 s3, 0
	v_mov_b32_e32 v42, v0
	v_mov_b32_e32 v0, 0
	s_lshl_b64 s[2:3], s[2:3], 4
	s_mov_b32 s32, 0
	s_wait_kmcnt 0x0
	s_add_nc_u64 s[2:3], s[4:5], s[2:3]
	v_cmp_eq_u32_e64 s5, 0, v42
	s_clause 0x1
	global_load_b64 v[45:46], v0, s[2:3]
	global_load_b32 v3, v0, s[2:3] offset:12
	s_wait_loadcnt 0x1
	v_sub_nc_u32_e32 v1, v46, v45
	s_and_saveexec_b32 s2, s5
	s_cbranch_execz .LBB5_2
; %bb.1:
	v_mov_b32_e32 v2, 1
	ds_store_b32 v0, v0 offset:15364
	ds_store_b96 v0, v[0:2] offset:15904
.LBB5_2:
	s_or_b32 exec_lo, exec_lo, s2
	s_wait_loadcnt 0x0
	v_cmp_eq_u32_e32 vcc_lo, 1, v3
	v_cmp_lt_u32_e64 s2, v42, v1
	s_mov_b32 s3, -1
	s_cbranch_vccnz .LBB5_7
; %bb.3:
	s_and_saveexec_b32 s3, s2
	s_cbranch_execz .LBB5_6
; %bb.4:
	v_dual_mov_b32 v3, 0 :: v_dual_lshlrev_b32 v0, 2, v42
	v_mov_b32_e32 v4, v42
	s_mov_b32 s4, 0
.LBB5_5:                                ; =>This Inner Loop Header: Depth=1
	s_delay_alu instid0(VALU_DEP_1) | instskip(SKIP_1) | instid1(VALU_DEP_2)
	v_add_nc_u32_e32 v2, v45, v4
	v_add_nc_u32_e32 v4, 0x80, v4
	v_lshlrev_b64_e32 v[5:6], 2, v[2:3]
	s_delay_alu instid0(VALU_DEP_1) | instskip(SKIP_1) | instid1(VALU_DEP_2)
	v_add_co_u32 v5, vcc_lo, s18, v5
	s_wait_alu 0xfffd
	v_add_co_ci_u32_e64 v6, null, s19, v6, vcc_lo
	v_cmp_ge_u32_e32 vcc_lo, v4, v1
	global_load_b32 v2, v[5:6], off
	s_or_b32 s4, vcc_lo, s4
	s_wait_loadcnt 0x0
	ds_store_b32 v0, v2
	v_add_nc_u32_e32 v0, 0x200, v0
	s_and_not1_b32 exec_lo, exec_lo, s4
	s_cbranch_execnz .LBB5_5
.LBB5_6:
	s_or_b32 exec_lo, exec_lo, s3
	s_mov_b32 s3, 0
.LBB5_7:
	s_delay_alu instid0(SALU_CYCLE_1)
	s_and_not1_b32 vcc_lo, exec_lo, s3
	s_wait_alu 0xfffe
	s_cbranch_vccnz .LBB5_12
; %bb.8:
	s_and_saveexec_b32 s3, s2
	s_cbranch_execz .LBB5_11
; %bb.9:
	v_dual_mov_b32 v3, 0 :: v_dual_lshlrev_b32 v0, 2, v42
	v_mov_b32_e32 v4, v42
	s_mov_b32 s2, 0
.LBB5_10:                               ; =>This Inner Loop Header: Depth=1
	s_delay_alu instid0(VALU_DEP_1) | instskip(SKIP_1) | instid1(VALU_DEP_2)
	v_add_nc_u32_e32 v2, v45, v4
	v_add_nc_u32_e32 v4, 0x80, v4
	v_lshlrev_b64_e32 v[5:6], 2, v[2:3]
	s_delay_alu instid0(VALU_DEP_1) | instskip(SKIP_1) | instid1(VALU_DEP_2)
	v_add_co_u32 v5, vcc_lo, s16, v5
	s_wait_alu 0xfffd
	v_add_co_ci_u32_e64 v6, null, s17, v6, vcc_lo
	v_cmp_ge_u32_e32 vcc_lo, v4, v1
	global_load_b32 v2, v[5:6], off
	s_or_b32 s2, vcc_lo, s2
	s_wait_loadcnt 0x0
	ds_store_b32 v0, v2
	v_add_nc_u32_e32 v0, 0x200, v0
	s_and_not1_b32 exec_lo, exec_lo, s2
	s_cbranch_execnz .LBB5_10
.LBB5_11:
	s_or_b32 exec_lo, exec_lo, s3
.LBB5_12:
	v_mov_b32_e32 v47, 0
	s_wait_dscnt 0x0
	s_barrier_signal -1
	s_barrier_wait -1
	global_inv scope:SCOPE_SE
	ds_load_b32 v0, v47 offset:15364
	s_wait_dscnt 0x0
	v_cmp_gt_i32_e32 vcc_lo, 0, v0
	s_cbranch_vccnz .LBB5_75
; %bb.13:
	v_dual_mov_b32 v46, v47 :: v_dual_lshlrev_b32 v3, 2, v42
	v_and_b32_e32 v4, 1, v42
	v_and_b32_e32 v5, 3, v42
	s_mov_b64 s[14:15], src_shared_base
	s_delay_alu instid0(VALU_DEP_3)
	v_lshlrev_b64_e32 v[1:2], 2, v[45:46]
	v_add_nc_u32_e32 v50, 0x3a00, v3
	v_add_nc_u32_e32 v51, 0x3c10, v3
	v_cmp_eq_u32_e64 s6, 1, v4
	v_add_nc_u32_e32 v52, 0x3c0c, v3
	v_add_nc_u32_e32 v53, 0x39fc, v3
	v_add_co_u32 v43, vcc_lo, s16, v1
	v_and_b32_e32 v1, 7, v42
	s_wait_alu 0xfffd
	v_add_co_ci_u32_e64 v44, null, s17, v2, vcc_lo
	v_and_b32_e32 v2, 15, v42
	v_cmp_eq_u32_e64 s7, 3, v5
	v_cmp_eq_u32_e64 s10, 7, v1
	v_and_b32_e32 v1, 31, v42
	v_add_nc_u32_e32 v54, 0x3c08, v3
	v_cmp_eq_u32_e64 s11, 15, v2
	v_and_b32_e32 v2, 63, v42
	v_add_nc_u32_e32 v55, 0x39f8, v3
	;; [unrolled: 3-line block ×3, first 2 shown]
	v_add_nc_u32_e32 v57, 0x39f0, v3
	v_add_nc_u32_e32 v58, 0x3bf0, v3
	;; [unrolled: 1-line block ×5, first 2 shown]
	v_cmp_eq_u32_e64 s13, 63, v2
	v_add_nc_u32_e32 v62, 0x3b90, v3
	v_add_nc_u32_e32 v63, 0x3980, v3
	v_cmp_eq_u32_e64 s14, 0x7f, v1
	v_add_nc_u32_e32 v64, 0x3b10, v3
	v_add_nc_u32_e32 v65, 0x3900, v3
	v_add_nc_u32_e64 v66, 0x3c00, 0
	v_add_nc_u32_e64 v67, 0x3800, 0
	s_add_nc_u64 s[8:9], s[0:1], 24
	s_branch .LBB5_15
.LBB5_14:                               ;   in Loop: Header=BB5_15 Depth=1
	ds_load_b32 v0, v47 offset:15364
	s_wait_dscnt 0x0
	v_cmp_lt_i32_e32 vcc_lo, -1, v0
	s_cbranch_vccz .LBB5_75
.LBB5_15:                               ; =>This Loop Header: Depth=1
                                        ;     Child Loop BB5_21 Depth 2
                                        ;     Child Loop BB5_56 Depth 2
	;; [unrolled: 1-line block ×3, first 2 shown]
	v_mul_lo_u32 v0, v0, 12
	s_delay_alu instid0(VALU_DEP_1)
	v_add_nc_u32_e32 v1, 0x3e20, v0
	ds_load_2addr_b32 v[40:41], v1 offset1:1
	ds_load_b32 v68, v0 offset:15912
	s_wait_loadcnt_dscnt 0x0
	s_barrier_signal -1
	s_barrier_wait -1
	global_inv scope:SCOPE_SE
	s_and_saveexec_b32 s0, s5
	s_cbranch_execz .LBB5_17
; %bb.16:                               ;   in Loop: Header=BB5_15 Depth=1
	ds_load_b32 v0, v47 offset:15364
	s_wait_dscnt 0x0
	v_add_nc_u32_e32 v0, -1, v0
	ds_store_2addr_b32 v66, v0, v47 offset0:1 offset1:133
	ds_store_b32 v47, v47 offset:15976
.LBB5_17:                               ;   in Loop: Header=BB5_15 Depth=1
	s_wait_alu 0xfffe
	s_or_b32 exec_lo, exec_lo, s0
	v_cmp_eq_u32_e32 vcc_lo, 1, v68
	v_dual_mov_b32 v1, s15 :: v_dual_mov_b32 v46, v40
	v_mov_b32_e32 v3, s15
	s_wait_alu 0xfffd
	v_cndmask_b32_e64 v0, 0x1b00, 0, vcc_lo
	v_cndmask_b32_e64 v2, 0, 0x1b00, vcc_lo
	ds_store_b32 v50, v47
	ds_store_b32 v51, v47
	ds_store_2addr_b64 v67, v[0:1], v[2:3] offset0:129 offset1:195
	s_wait_loadcnt_dscnt 0x0
	s_barrier_signal -1
	s_barrier_wait -1
	global_inv scope:SCOPE_SE
	ds_load_b64 v[0:1], v47 offset:15368
	v_lshlrev_b64_e32 v[2:3], 2, v[46:47]
	s_wait_dscnt 0x0
	s_delay_alu instid0(VALU_DEP_1) | instskip(SKIP_1) | instid1(VALU_DEP_2)
	v_add_co_u32 v2, vcc_lo, v0, v2
	s_wait_alu 0xfffd
	v_add_co_ci_u32_e64 v3, null, v1, v3, vcc_lo
	v_cmp_ge_u32_e32 vcc_lo, v40, v41
	flat_load_b32 v2, v[2:3]
	s_wait_loadcnt_dscnt 0x0
	v_cvt_u32_f32_e32 v8, v2
	s_cbranch_vccnz .LBB5_19
; %bb.18:                               ;   in Loop: Header=BB5_15 Depth=1
	v_add_nc_u32_e32 v2, v41, v40
	s_delay_alu instid0(VALU_DEP_1) | instskip(NEXT) | instid1(VALU_DEP_1)
	v_lshrrev_b32_e32 v46, 1, v2
	v_lshlrev_b64_e32 v[2:3], 2, v[46:47]
	v_add_nc_u32_e32 v46, -1, v41
	s_delay_alu instid0(VALU_DEP_1) | instskip(NEXT) | instid1(VALU_DEP_3)
	v_lshlrev_b64_e32 v[4:5], 2, v[46:47]
	v_add_co_u32 v2, vcc_lo, v0, v2
	s_wait_alu 0xfffd
	s_delay_alu instid0(VALU_DEP_4) | instskip(NEXT) | instid1(VALU_DEP_3)
	v_add_co_ci_u32_e64 v3, null, v1, v3, vcc_lo
	v_add_co_u32 v4, vcc_lo, v0, v4
	s_wait_alu 0xfffd
	v_add_co_ci_u32_e64 v5, null, v1, v5, vcc_lo
	s_clause 0x1
	flat_load_b32 v2, v[2:3]
	flat_load_b32 v3, v[4:5]
	s_wait_loadcnt_dscnt 0x101
	v_cvt_u32_f32_e32 v2, v2
	s_wait_loadcnt_dscnt 0x0
	v_cvt_u32_f32_e32 v3, v3
	s_delay_alu instid0(VALU_DEP_2) | instskip(NEXT) | instid1(VALU_DEP_2)
	v_max_u32_e32 v4, v8, v2
	v_minmax_u32 v2, v8, v2, v3
	s_delay_alu instid0(VALU_DEP_2) | instskip(SKIP_1) | instid1(VALU_DEP_2)
	v_cmp_lt_u32_e32 vcc_lo, v4, v3
	s_wait_alu 0xfffd
	v_cndmask_b32_e32 v8, v2, v4, vcc_lo
.LBB5_19:                               ;   in Loop: Header=BB5_15 Depth=1
	v_dual_mov_b32 v2, 0 :: v_dual_add_nc_u32 v9, v40, v42
	v_mov_b32_e32 v3, 0
	s_delay_alu instid0(VALU_DEP_2)
	v_cmp_lt_u32_e32 vcc_lo, v9, v41
	s_and_saveexec_b32 s2, vcc_lo
	s_cbranch_execz .LBB5_23
; %bb.20:                               ;   in Loop: Header=BB5_15 Depth=1
	v_dual_mov_b32 v2, 0 :: v_dual_mov_b32 v3, 0
	v_mov_b32_e32 v46, v9
	s_mov_b32 s3, 0
.LBB5_21:                               ;   Parent Loop BB5_15 Depth=1
                                        ; =>  This Inner Loop Header: Depth=2
	s_delay_alu instid0(VALU_DEP_1) | instskip(SKIP_1) | instid1(VALU_DEP_2)
	v_lshlrev_b64_e32 v[4:5], 2, v[46:47]
	v_add_nc_u32_e32 v46, 0x80, v46
	v_add_co_u32 v4, s0, v0, v4
	s_wait_alu 0xf1ff
	s_delay_alu instid0(VALU_DEP_3) | instskip(NEXT) | instid1(VALU_DEP_3)
	v_add_co_ci_u32_e64 v5, null, v1, v5, s0
	v_cmp_ge_u32_e64 s0, v46, v41
	flat_load_b32 v4, v[4:5]
	s_wait_alu 0xfffe
	s_or_b32 s3, s0, s3
	s_wait_loadcnt_dscnt 0x0
	v_cvt_u32_f32_e32 v4, v4
	s_delay_alu instid0(VALU_DEP_1) | instskip(SKIP_1) | instid1(VALU_DEP_1)
	v_cmp_gt_u32_e64 s1, v8, v4
	s_wait_alu 0xf1ff
	v_add_co_ci_u32_e64 v2, null, 0, v2, s1
	v_cmp_lt_u32_e64 s1, v8, v4
	s_wait_alu 0xf1ff
	s_delay_alu instid0(VALU_DEP_1)
	v_add_co_ci_u32_e64 v3, null, 0, v3, s1
	s_wait_alu 0xfffe
	s_and_not1_b32 exec_lo, exec_lo, s3
	s_cbranch_execnz .LBB5_21
; %bb.22:                               ;   in Loop: Header=BB5_15 Depth=1
	s_or_b32 exec_lo, exec_lo, s3
.LBB5_23:                               ;   in Loop: Header=BB5_15 Depth=1
	s_wait_alu 0xfffe
	s_or_b32 exec_lo, exec_lo, s2
	ds_store_b32 v51, v2
	ds_store_b32 v50, v3
	s_wait_dscnt 0x0
	s_barrier_signal -1
	s_barrier_wait -1
	global_inv scope:SCOPE_SE
	s_and_saveexec_b32 s0, s6
	s_cbranch_execz .LBB5_25
; %bb.24:                               ;   in Loop: Header=BB5_15 Depth=1
	ds_load_2addr_b32 v[0:1], v52 offset1:1
	ds_load_2addr_b32 v[2:3], v53 offset1:1
	s_wait_dscnt 0x1
	v_add_nc_u32_e32 v0, v1, v0
	s_wait_dscnt 0x0
	v_add_nc_u32_e32 v1, v3, v2
	ds_store_b32 v51, v0
	ds_store_b32 v50, v1
.LBB5_25:                               ;   in Loop: Header=BB5_15 Depth=1
	s_wait_alu 0xfffe
	s_or_b32 exec_lo, exec_lo, s0
	s_wait_loadcnt_dscnt 0x0
	s_barrier_signal -1
	s_barrier_wait -1
	global_inv scope:SCOPE_SE
	s_and_saveexec_b32 s0, s7
	s_cbranch_execz .LBB5_27
; %bb.26:                               ;   in Loop: Header=BB5_15 Depth=1
	ds_load_b32 v0, v54
	ds_load_b32 v1, v55
	ds_load_b32 v2, v51
	ds_load_b32 v3, v50
	s_wait_dscnt 0x1
	v_add_nc_u32_e32 v0, v2, v0
	s_wait_dscnt 0x0
	v_add_nc_u32_e32 v1, v3, v1
	ds_store_b32 v51, v0
	ds_store_b32 v50, v1
.LBB5_27:                               ;   in Loop: Header=BB5_15 Depth=1
	s_wait_alu 0xfffe
	s_or_b32 exec_lo, exec_lo, s0
	s_wait_loadcnt_dscnt 0x0
	s_barrier_signal -1
	s_barrier_wait -1
	global_inv scope:SCOPE_SE
	s_and_saveexec_b32 s0, s10
	s_cbranch_execz .LBB5_29
; %bb.28:                               ;   in Loop: Header=BB5_15 Depth=1
	ds_load_b32 v0, v56
	ds_load_b32 v1, v57
	ds_load_b32 v2, v51
	ds_load_b32 v3, v50
	s_wait_dscnt 0x1
	v_add_nc_u32_e32 v0, v2, v0
	s_wait_dscnt 0x0
	v_add_nc_u32_e32 v1, v3, v1
	ds_store_b32 v51, v0
	ds_store_b32 v50, v1
.LBB5_29:                               ;   in Loop: Header=BB5_15 Depth=1
	;; [unrolled: 20-line block ×6, first 2 shown]
	s_wait_alu 0xfffe
	s_or_b32 exec_lo, exec_lo, s0
	s_wait_loadcnt_dscnt 0x0
	s_barrier_signal -1
	s_barrier_wait -1
	global_inv scope:SCOPE_SE
	s_and_saveexec_b32 s0, s14
	s_cbranch_execz .LBB5_39
; %bb.38:                               ;   in Loop: Header=BB5_15 Depth=1
	ds_load_b32 v0, v51
	ds_load_b32 v1, v50
	s_wait_dscnt 0x0
	ds_store_b64 v47, v[0:1] offset:15888
	ds_store_b32 v47, v1 offset:15360
	ds_store_b32 v47, v0 offset:15976
	ds_store_b32 v51, v47
	ds_store_b32 v50, v47
.LBB5_39:                               ;   in Loop: Header=BB5_15 Depth=1
	s_wait_alu 0xfffe
	s_or_b32 exec_lo, exec_lo, s0
	s_and_saveexec_b32 s0, s14
	s_cbranch_execz .LBB5_41
; %bb.40:                               ;   in Loop: Header=BB5_15 Depth=1
	ds_load_b32 v0, v64
	ds_load_b32 v1, v65
	ds_load_b32 v2, v51
	ds_load_b32 v3, v50
	s_wait_dscnt 0x1
	v_add_nc_u32_e32 v0, v2, v0
	s_wait_dscnt 0x0
	v_add_nc_u32_e32 v1, v3, v1
	ds_store_b32 v64, v2
	ds_store_b32 v65, v3
	ds_store_b32 v51, v0
	ds_store_b32 v50, v1
.LBB5_41:                               ;   in Loop: Header=BB5_15 Depth=1
	s_wait_alu 0xfffe
	s_or_b32 exec_lo, exec_lo, s0
	s_wait_loadcnt_dscnt 0x0
	s_barrier_signal -1
	s_barrier_wait -1
	global_inv scope:SCOPE_SE
	s_and_saveexec_b32 s0, s13
	s_cbranch_execz .LBB5_43
; %bb.42:                               ;   in Loop: Header=BB5_15 Depth=1
	ds_load_b32 v0, v62
	ds_load_b32 v1, v63
	ds_load_b32 v2, v51
	ds_load_b32 v3, v50
	s_wait_dscnt 0x1
	v_add_nc_u32_e32 v0, v2, v0
	s_wait_dscnt 0x0
	v_add_nc_u32_e32 v1, v3, v1
	ds_store_b32 v62, v2
	ds_store_b32 v63, v3
	ds_store_b32 v51, v0
	ds_store_b32 v50, v1
.LBB5_43:                               ;   in Loop: Header=BB5_15 Depth=1
	s_wait_alu 0xfffe
	s_or_b32 exec_lo, exec_lo, s0
	s_wait_loadcnt_dscnt 0x0
	s_barrier_signal -1
	s_barrier_wait -1
	global_inv scope:SCOPE_SE
	;; [unrolled: 22-line block ×6, first 2 shown]
	s_and_saveexec_b32 s0, s6
	s_cbranch_execz .LBB5_53
; %bb.52:                               ;   in Loop: Header=BB5_15 Depth=1
	ds_load_2addr_b32 v[0:1], v52 offset1:1
	ds_load_2addr_b32 v[2:3], v53 offset1:1
	s_wait_dscnt 0x1
	v_add_nc_u32_e32 v0, v1, v0
	s_wait_dscnt 0x0
	v_add_nc_u32_e32 v2, v3, v2
	ds_store_2addr_b32 v52, v1, v0 offset1:1
	ds_store_2addr_b32 v53, v3, v2 offset1:1
.LBB5_53:                               ;   in Loop: Header=BB5_15 Depth=1
	s_wait_alu 0xfffe
	s_or_b32 exec_lo, exec_lo, s0
	s_wait_loadcnt_dscnt 0x0
	s_barrier_signal -1
	s_barrier_wait -1
	global_inv scope:SCOPE_SE
	s_and_saveexec_b32 s0, vcc_lo
	s_cbranch_execz .LBB5_60
; %bb.54:                               ;   in Loop: Header=BB5_15 Depth=1
	ds_load_b32 v4, v50 offset:4
	ds_load_b32 v5, v51
	ds_load_2addr_b64 v[0:3], v67 offset0:129 offset1:195
	v_mov_b32_e32 v46, v9
	s_mov_b32 s1, 0
	s_wait_dscnt 0x2
	v_sub_nc_u32_e32 v4, v41, v4
	s_wait_dscnt 0x1
	v_add_nc_u32_e32 v6, v5, v40
	s_branch .LBB5_56
.LBB5_55:                               ;   in Loop: Header=BB5_56 Depth=2
	s_wait_alu 0xfffe
	s_or_b32 exec_lo, exec_lo, s2
	v_add_nc_u32_e32 v46, 0x80, v46
	s_delay_alu instid0(VALU_DEP_1)
	v_cmp_ge_u32_e32 vcc_lo, v46, v41
	s_or_b32 s1, vcc_lo, s1
	s_wait_alu 0xfffe
	s_and_not1_b32 exec_lo, exec_lo, s1
	s_cbranch_execz .LBB5_60
.LBB5_56:                               ;   Parent Loop BB5_15 Depth=1
                                        ; =>  This Inner Loop Header: Depth=2
	v_lshlrev_b64_e32 v[10:11], 2, v[46:47]
	s_mov_b32 s2, exec_lo
	s_wait_dscnt 0x0
	s_delay_alu instid0(VALU_DEP_1) | instskip(SKIP_1) | instid1(VALU_DEP_2)
	v_add_co_u32 v10, vcc_lo, v0, v10
	s_wait_alu 0xfffd
	v_add_co_ci_u32_e64 v11, null, v1, v11, vcc_lo
	flat_load_b32 v5, v[10:11]
	s_wait_loadcnt_dscnt 0x0
	v_cvt_u32_f32_e32 v5, v5
	s_delay_alu instid0(VALU_DEP_1)
	v_cvt_f32_u32_e32 v10, v5
	v_cmpx_gt_u32_e64 v8, v5
	s_cbranch_execz .LBB5_58
; %bb.57:                               ;   in Loop: Header=BB5_56 Depth=2
	v_mov_b32_e32 v7, v47
	s_delay_alu instid0(VALU_DEP_1) | instskip(SKIP_1) | instid1(VALU_DEP_2)
	v_lshlrev_b64_e32 v[11:12], 2, v[6:7]
	v_add_nc_u32_e32 v6, 1, v6
	v_add_co_u32 v11, vcc_lo, v2, v11
	s_wait_alu 0xfffd
	s_delay_alu instid0(VALU_DEP_3)
	v_add_co_ci_u32_e64 v12, null, v3, v12, vcc_lo
	flat_store_b32 v[11:12], v10
.LBB5_58:                               ;   in Loop: Header=BB5_56 Depth=2
	s_wait_alu 0xfffe
	s_or_b32 exec_lo, exec_lo, s2
	s_delay_alu instid0(SALU_CYCLE_1)
	s_mov_b32 s2, exec_lo
	v_cmpx_lt_u32_e64 v8, v5
	s_cbranch_execz .LBB5_55
; %bb.59:                               ;   in Loop: Header=BB5_56 Depth=2
	v_mov_b32_e32 v5, v47
	s_delay_alu instid0(VALU_DEP_1) | instskip(SKIP_1) | instid1(VALU_DEP_2)
	v_lshlrev_b64_e32 v[11:12], 2, v[4:5]
	v_add_nc_u32_e32 v4, 1, v4
	v_add_co_u32 v11, vcc_lo, v2, v11
	s_wait_alu 0xfffd
	s_delay_alu instid0(VALU_DEP_3)
	v_add_co_ci_u32_e64 v12, null, v3, v12, vcc_lo
	flat_store_b32 v[11:12], v10
	s_branch .LBB5_55
.LBB5_60:                               ;   in Loop: Header=BB5_15 Depth=1
	s_wait_alu 0xfffe
	s_or_b32 exec_lo, exec_lo, s0
	s_wait_storecnt 0x0
	s_wait_loadcnt_dscnt 0x0
	s_barrier_signal -1
	s_barrier_wait -1
	global_inv scope:SCOPE_SE
	ds_load_2addr_b32 v[1:2], v66 offset0:133 offset1:154
	s_mov_b32 s1, exec_lo
	s_wait_dscnt 0x0
	v_add_nc_u32_e32 v0, v9, v2
	v_sub_nc_u32_e32 v1, v41, v1
	s_delay_alu instid0(VALU_DEP_1)
	v_cmpx_lt_u32_e64 v0, v1
	s_cbranch_execz .LBB5_63
; %bb.61:                               ;   in Loop: Header=BB5_15 Depth=1
	v_cvt_f32_u32_e32 v2, v8
	s_mov_b32 s2, 0
.LBB5_62:                               ;   Parent Loop BB5_15 Depth=1
                                        ; =>  This Inner Loop Header: Depth=2
	v_add_nc_u32_e32 v46, v45, v0
	v_add_nc_u32_e32 v0, 0x80, v0
	s_delay_alu instid0(VALU_DEP_2) | instskip(NEXT) | instid1(VALU_DEP_2)
	v_lshlrev_b64_e32 v[3:4], 2, v[46:47]
	v_cmp_ge_u32_e32 vcc_lo, v0, v1
	s_wait_alu 0xfffe
	s_or_b32 s2, vcc_lo, s2
	s_delay_alu instid0(VALU_DEP_2)
	v_add_co_u32 v3, s0, s16, v3
	s_wait_alu 0xf1ff
	v_add_co_ci_u32_e64 v4, null, s17, v4, s0
	global_store_b32 v[3:4], v2, off
	s_wait_alu 0xfffe
	s_and_not1_b32 exec_lo, exec_lo, s2
	s_cbranch_execnz .LBB5_62
.LBB5_63:                               ;   in Loop: Header=BB5_15 Depth=1
	s_wait_alu 0xfffe
	s_or_b32 exec_lo, exec_lo, s1
	s_wait_loadcnt 0x0
	s_wait_storecnt 0x0
	s_barrier_signal -1
	s_barrier_wait -1
	global_inv scope:SCOPE_SE
	ds_load_b32 v2, v47 offset:15976
	s_mov_b32 s0, -1
	s_wait_dscnt 0x0
	v_cmp_lt_u32_e32 vcc_lo, 0x100, v2
	s_cbranch_vccz .LBB5_67
; %bb.64:                               ;   in Loop: Header=BB5_15 Depth=1
	s_and_saveexec_b32 s0, s5
	s_cbranch_execz .LBB5_66
; %bb.65:                               ;   in Loop: Header=BB5_15 Depth=1
	ds_load_b32 v0, v47 offset:15364
	v_add_nc_u32_e32 v3, v2, v40
	v_xor_b32_e32 v5, 1, v68
	s_wait_dscnt 0x0
	v_mul_lo_u32 v1, v0, 12
	v_add_nc_u32_e32 v0, 1, v0
	s_delay_alu instid0(VALU_DEP_2)
	v_add_nc_u32_e32 v4, 0x3e2c, v1
	ds_store_b32 v47, v0 offset:15364
	ds_store_2addr_b32 v4, v40, v3 offset1:1
	ds_store_b32 v1, v5 offset:15924
.LBB5_66:                               ;   in Loop: Header=BB5_15 Depth=1
	s_wait_alu 0xfffe
	s_or_b32 exec_lo, exec_lo, s0
	s_mov_b32 s0, 0
	s_wait_loadcnt_dscnt 0x0
	s_barrier_signal -1
	s_barrier_wait -1
	global_inv scope:SCOPE_SE
.LBB5_67:                               ;   in Loop: Header=BB5_15 Depth=1
	s_wait_alu 0xfffe
	s_and_b32 vcc_lo, exec_lo, s0
	s_wait_alu 0xfffe
	s_cbranch_vccz .LBB5_69
; %bb.68:                               ;   in Loop: Header=BB5_15 Depth=1
	ds_load_b64 v[0:1], v47 offset:15896
	v_dual_mov_b32 v2, v43 :: v_dual_add_nc_u32 v5, v2, v40
	v_dual_mov_b32 v3, v44 :: v_dual_mov_b32 v4, v40
	v_mov_b32_e32 v6, v42
	s_getpc_b64 s[0:1]
	s_wait_alu 0xfffe
	s_sext_i32_i16 s1, s1
	s_add_co_u32 s0, s0, _Z14sort_thresholdIfEvPT_S1_jjS1_j@rel32@lo+12
	s_wait_alu 0xfffe
	s_add_co_ci_u32 s1, s1, _Z14sort_thresholdIfEvPT_S1_jjS1_j@rel32@hi+24
	s_wait_alu 0xfffe
	s_swappc_b64 s[30:31], s[0:1]
.LBB5_69:                               ;   in Loop: Header=BB5_15 Depth=1
	ds_load_b32 v2, v47 offset:15892
	s_mov_b32 s0, -1
	s_wait_dscnt 0x0
	v_cmp_lt_u32_e32 vcc_lo, 0x100, v2
	s_cbranch_vccnz .LBB5_71
; %bb.70:                               ;   in Loop: Header=BB5_15 Depth=1
	s_wait_alu 0xfffe
	s_and_b32 vcc_lo, exec_lo, s0
	s_wait_alu 0xfffe
	s_cbranch_vccz .LBB5_14
	s_branch .LBB5_74
.LBB5_71:                               ;   in Loop: Header=BB5_15 Depth=1
	s_and_saveexec_b32 s0, s5
	s_cbranch_execz .LBB5_73
; %bb.72:                               ;   in Loop: Header=BB5_15 Depth=1
	ds_load_b32 v0, v47 offset:15364
	v_sub_nc_u32_e32 v3, v41, v2
	v_xor_b32_e32 v5, 1, v68
	s_wait_dscnt 0x0
	v_mul_lo_u32 v1, v0, 12
	v_add_nc_u32_e32 v0, 1, v0
	s_delay_alu instid0(VALU_DEP_2)
	v_add_nc_u32_e32 v4, 0x3e2c, v1
	ds_store_b32 v47, v0 offset:15364
	ds_store_2addr_b32 v4, v3, v41 offset1:1
	ds_store_b32 v1, v5 offset:15924
.LBB5_73:                               ;   in Loop: Header=BB5_15 Depth=1
	s_wait_alu 0xfffe
	s_or_b32 exec_lo, exec_lo, s0
	s_wait_storecnt 0x0
	s_wait_loadcnt_dscnt 0x0
	s_barrier_signal -1
	s_barrier_wait -1
	global_inv scope:SCOPE_SE
	s_branch .LBB5_14
.LBB5_74:                               ;   in Loop: Header=BB5_15 Depth=1
	ds_load_b64 v[0:1], v47 offset:15896
	v_sub_nc_u32_e32 v4, v41, v2
	v_dual_mov_b32 v2, v43 :: v_dual_mov_b32 v3, v44
	v_dual_mov_b32 v5, v41 :: v_dual_mov_b32 v6, v42
	s_getpc_b64 s[0:1]
	s_wait_alu 0xfffe
	s_sext_i32_i16 s1, s1
	s_add_co_u32 s0, s0, _Z14sort_thresholdIfEvPT_S1_jjS1_j@rel32@lo+12
	s_wait_alu 0xfffe
	s_add_co_ci_u32 s1, s1, _Z14sort_thresholdIfEvPT_S1_jjS1_j@rel32@hi+24
	s_wait_alu 0xfffe
	s_swappc_b64 s[30:31], s[0:1]
	s_branch .LBB5_14
.LBB5_75:
	s_endpgm
	.section	.rodata,"a",@progbits
	.p2align	6, 0x0
	.amdhsa_kernel _Z13lqsort_kernelIfEvPT_S1_P11work_recordIS0_E
		.amdhsa_group_segment_fixed_size 15984
		.amdhsa_private_segment_fixed_size 0
		.amdhsa_kernarg_size 280
		.amdhsa_user_sgpr_count 2
		.amdhsa_user_sgpr_dispatch_ptr 0
		.amdhsa_user_sgpr_queue_ptr 0
		.amdhsa_user_sgpr_kernarg_segment_ptr 1
		.amdhsa_user_sgpr_dispatch_id 0
		.amdhsa_user_sgpr_private_segment_size 0
		.amdhsa_wavefront_size32 1
		.amdhsa_uses_dynamic_stack 0
		.amdhsa_enable_private_segment 0
		.amdhsa_system_sgpr_workgroup_id_x 1
		.amdhsa_system_sgpr_workgroup_id_y 0
		.amdhsa_system_sgpr_workgroup_id_z 0
		.amdhsa_system_sgpr_workgroup_info 0
		.amdhsa_system_vgpr_workitem_id 0
		.amdhsa_next_free_vgpr 69
		.amdhsa_next_free_sgpr 33
		.amdhsa_reserve_vcc 1
		.amdhsa_float_round_mode_32 0
		.amdhsa_float_round_mode_16_64 0
		.amdhsa_float_denorm_mode_32 3
		.amdhsa_float_denorm_mode_16_64 3
		.amdhsa_fp16_overflow 0
		.amdhsa_workgroup_processor_mode 1
		.amdhsa_memory_ordered 1
		.amdhsa_forward_progress 1
		.amdhsa_inst_pref_size 32
		.amdhsa_round_robin_scheduling 0
		.amdhsa_exception_fp_ieee_invalid_op 0
		.amdhsa_exception_fp_denorm_src 0
		.amdhsa_exception_fp_ieee_div_zero 0
		.amdhsa_exception_fp_ieee_overflow 0
		.amdhsa_exception_fp_ieee_underflow 0
		.amdhsa_exception_fp_ieee_inexact 0
		.amdhsa_exception_int_div_zero 0
	.end_amdhsa_kernel
	.section	.text._Z13lqsort_kernelIfEvPT_S1_P11work_recordIS0_E,"axG",@progbits,_Z13lqsort_kernelIfEvPT_S1_P11work_recordIS0_E,comdat
.Lfunc_end5:
	.size	_Z13lqsort_kernelIfEvPT_S1_P11work_recordIS0_E, .Lfunc_end5-_Z13lqsort_kernelIfEvPT_S1_P11work_recordIS0_E
                                        ; -- End function
	.set _Z13lqsort_kernelIfEvPT_S1_P11work_recordIS0_E.num_vgpr, max(69, .L_Z14sort_thresholdIfEvPT_S1_jjS1_j.num_vgpr)
	.set _Z13lqsort_kernelIfEvPT_S1_P11work_recordIS0_E.num_agpr, max(0, .L_Z14sort_thresholdIfEvPT_S1_jjS1_j.num_agpr)
	.set _Z13lqsort_kernelIfEvPT_S1_P11work_recordIS0_E.numbered_sgpr, max(33, .L_Z14sort_thresholdIfEvPT_S1_jjS1_j.numbered_sgpr)
	.set _Z13lqsort_kernelIfEvPT_S1_P11work_recordIS0_E.num_named_barrier, max(0, .L_Z14sort_thresholdIfEvPT_S1_jjS1_j.num_named_barrier)
	.set _Z13lqsort_kernelIfEvPT_S1_P11work_recordIS0_E.private_seg_size, 0+max(.L_Z14sort_thresholdIfEvPT_S1_jjS1_j.private_seg_size)
	.set _Z13lqsort_kernelIfEvPT_S1_P11work_recordIS0_E.uses_vcc, or(1, .L_Z14sort_thresholdIfEvPT_S1_jjS1_j.uses_vcc)
	.set _Z13lqsort_kernelIfEvPT_S1_P11work_recordIS0_E.uses_flat_scratch, or(1, .L_Z14sort_thresholdIfEvPT_S1_jjS1_j.uses_flat_scratch)
	.set _Z13lqsort_kernelIfEvPT_S1_P11work_recordIS0_E.has_dyn_sized_stack, or(0, .L_Z14sort_thresholdIfEvPT_S1_jjS1_j.has_dyn_sized_stack)
	.set _Z13lqsort_kernelIfEvPT_S1_P11work_recordIS0_E.has_recursion, or(0, .L_Z14sort_thresholdIfEvPT_S1_jjS1_j.has_recursion)
	.set _Z13lqsort_kernelIfEvPT_S1_P11work_recordIS0_E.has_indirect_call, or(0, .L_Z14sort_thresholdIfEvPT_S1_jjS1_j.has_indirect_call)
	.section	.AMDGPU.csdata,"",@progbits
; Kernel info:
; codeLenInByte = 3992
; TotalNumSgprs: 35
; NumVgprs: 69
; ScratchSize: 0
; MemoryBound: 0
; FloatMode: 240
; IeeeMode: 1
; LDSByteSize: 15984 bytes/workgroup (compile time only)
; SGPRBlocks: 0
; VGPRBlocks: 8
; NumSGPRsForWavesPerEU: 35
; NumVGPRsForWavesPerEU: 69
; Occupancy: 16
; WaveLimiterHint : 1
; COMPUTE_PGM_RSRC2:SCRATCH_EN: 0
; COMPUTE_PGM_RSRC2:USER_SGPR: 2
; COMPUTE_PGM_RSRC2:TRAP_HANDLER: 0
; COMPUTE_PGM_RSRC2:TGID_X_EN: 1
; COMPUTE_PGM_RSRC2:TGID_Y_EN: 0
; COMPUTE_PGM_RSRC2:TGID_Z_EN: 0
; COMPUTE_PGM_RSRC2:TIDIG_COMP_CNT: 0
	.section	.text._Z13gqsort_kernelIdEvPT_S1_P12block_recordIS0_EP13parent_recordP11work_recordIS0_E,"axG",@progbits,_Z13gqsort_kernelIdEvPT_S1_P12block_recordIS0_EP13parent_recordP11work_recordIS0_E,comdat
	.protected	_Z13gqsort_kernelIdEvPT_S1_P12block_recordIS0_EP13parent_recordP11work_recordIS0_E ; -- Begin function _Z13gqsort_kernelIdEvPT_S1_P12block_recordIS0_EP13parent_recordP11work_recordIS0_E
	.globl	_Z13gqsort_kernelIdEvPT_S1_P12block_recordIS0_EP13parent_recordP11work_recordIS0_E
	.p2align	8
	.type	_Z13gqsort_kernelIdEvPT_S1_P12block_recordIS0_EP13parent_recordP11work_recordIS0_E,@function
_Z13gqsort_kernelIdEvPT_S1_P12block_recordIS0_EP13parent_recordP11work_recordIS0_E: ; @_Z13gqsort_kernelIdEvPT_S1_P12block_recordIS0_EP13parent_recordP11work_recordIS0_E
; %bb.0:
	s_load_b256 s[8:15], s[0:1], 0x0
	s_mov_b32 s2, ttmp9
	s_mov_b32 s3, 0
	v_dual_mov_b32 v5, 0 :: v_dual_lshlrev_b32 v4, 2, v0
	s_mul_u64 s[4:5], s[2:3], 24
	v_mov_b32_e32 v6, 0
	s_wait_kmcnt 0x0
	s_add_nc_u64 s[4:5], s[12:13], s[4:5]
	s_clause 0x1
	s_load_b64 s[20:21], s[4:5], 0x10
	s_load_b128 s[16:19], s[4:5], 0x0
	s_load_b64 s[12:13], s[0:1], 0x20
	ds_store_2addr_b32 v4, v5, v5 offset1:132
	s_wait_dscnt 0x0
	s_barrier_signal -1
	s_barrier_wait -1
	global_inv scope:SCOPE_SE
	s_wait_kmcnt 0x0
	s_cmp_eq_u32 s20, 1
	v_add_nc_u32_e32 v1, s16, v0
	s_cselect_b32 s29, -1, 0
	s_delay_alu instid0(SALU_CYCLE_1) | instskip(SKIP_1) | instid1(VALU_DEP_1)
	s_and_b32 s0, s29, exec_lo
	s_cselect_b32 s16, s9, s11
	v_cmp_gt_u32_e32 vcc_lo, s17, v1
	s_cselect_b32 s28, s8, s10
	s_and_saveexec_b32 s2, vcc_lo
	s_cbranch_execz .LBB6_4
; %bb.1:
	v_dual_mov_b32 v3, 0 :: v_dual_mov_b32 v6, 0
	s_delay_alu instid0(VALU_DEP_1)
	v_dual_mov_b32 v2, v1 :: v_dual_mov_b32 v5, v3
.LBB6_2:                                ; =>This Inner Loop Header: Depth=1
	s_delay_alu instid0(VALU_DEP_1) | instskip(SKIP_1) | instid1(VALU_DEP_2)
	v_lshlrev_b64_e32 v[7:8], 3, v[2:3]
	v_add_nc_u32_e32 v2, 0x80, v2
	v_add_co_u32 v7, s0, s28, v7
	s_wait_alu 0xf1fe
	s_delay_alu instid0(VALU_DEP_3) | instskip(NEXT) | instid1(VALU_DEP_3)
	v_add_co_ci_u32_e64 v8, null, s16, v8, s0
	v_cmp_le_u32_e64 s0, s17, v2
	global_load_b64 v[7:8], v[7:8], off
	s_or_b32 s3, s0, s3
	s_wait_loadcnt 0x0
	v_cvt_u32_f64_e32 v7, v[7:8]
	s_delay_alu instid0(VALU_DEP_1) | instskip(NEXT) | instid1(VALU_DEP_1)
	v_cvt_f64_u32_e32 v[7:8], v7
	v_cmp_gt_f64_e64 s1, s[18:19], v[7:8]
	s_wait_alu 0xf1ff
	s_delay_alu instid0(VALU_DEP_1) | instskip(SKIP_2) | instid1(VALU_DEP_1)
	v_add_co_ci_u32_e64 v5, null, 0, v5, s1
	v_cmp_lt_f64_e64 s1, s[18:19], v[7:8]
	s_wait_alu 0xf1ff
	v_add_co_ci_u32_e64 v6, null, 0, v6, s1
	s_and_not1_b32 exec_lo, exec_lo, s3
	s_cbranch_execnz .LBB6_2
; %bb.3:
	s_or_b32 exec_lo, exec_lo, s3
.LBB6_4:
	s_delay_alu instid0(SALU_CYCLE_1)
	s_or_b32 exec_lo, exec_lo, s2
	v_add_nc_u32_e32 v3, 0x210, v4
	v_and_b32_e32 v7, 1, v0
	ds_store_b32 v3, v5
	ds_store_b32 v4, v6
	v_add_nc_u32_e32 v2, -4, v3
	v_cmp_eq_u32_e64 s0, 1, v7
	v_add_nc_u32_e32 v5, -4, v4
	s_wait_loadcnt_dscnt 0x0
	s_barrier_signal -1
	s_barrier_wait -1
	global_inv scope:SCOPE_SE
	s_and_saveexec_b32 s1, s0
	s_cbranch_execz .LBB6_6
; %bb.5:
	ds_load_2addr_b32 v[6:7], v2 offset1:1
	ds_load_2addr_b32 v[8:9], v5 offset1:1
	s_wait_dscnt 0x1
	v_add_nc_u32_e32 v6, v7, v6
	s_wait_dscnt 0x0
	v_add_nc_u32_e32 v7, v9, v8
	ds_store_b32 v3, v6
	ds_store_b32 v4, v7
.LBB6_6:
	s_wait_alu 0xfffe
	s_or_b32 exec_lo, exec_lo, s1
	v_and_b32_e32 v7, 3, v0
	v_add_nc_u32_e32 v6, -8, v3
	s_wait_loadcnt_dscnt 0x0
	s_barrier_signal -1
	s_barrier_wait -1
	v_cmp_eq_u32_e64 s1, 3, v7
	v_add_nc_u32_e32 v7, -8, v4
	global_inv scope:SCOPE_SE
	s_and_saveexec_b32 s2, s1
	s_cbranch_execz .LBB6_8
; %bb.7:
	ds_load_b32 v8, v6
	ds_load_b32 v9, v7
	;; [unrolled: 1-line block ×4, first 2 shown]
	s_wait_dscnt 0x1
	v_add_nc_u32_e32 v8, v10, v8
	s_wait_dscnt 0x0
	v_add_nc_u32_e32 v9, v11, v9
	ds_store_b32 v3, v8
	ds_store_b32 v4, v9
.LBB6_8:
	s_or_b32 exec_lo, exec_lo, s2
	v_and_b32_e32 v9, 7, v0
	v_add_nc_u32_e32 v8, -16, v3
	s_wait_loadcnt_dscnt 0x0
	s_barrier_signal -1
	s_barrier_wait -1
	v_cmp_eq_u32_e64 s2, 7, v9
	v_add_nc_u32_e32 v9, -16, v4
	global_inv scope:SCOPE_SE
	s_and_saveexec_b32 s3, s2
	s_cbranch_execz .LBB6_10
; %bb.9:
	ds_load_b32 v10, v8
	ds_load_b32 v11, v9
	ds_load_b32 v12, v3
	ds_load_b32 v13, v4
	s_wait_dscnt 0x1
	v_add_nc_u32_e32 v10, v12, v10
	s_wait_dscnt 0x0
	v_add_nc_u32_e32 v11, v13, v11
	ds_store_b32 v3, v10
	ds_store_b32 v4, v11
.LBB6_10:
	s_or_b32 exec_lo, exec_lo, s3
	v_and_b32_e32 v11, 15, v0
	v_subrev_nc_u32_e32 v10, 32, v3
	s_wait_loadcnt_dscnt 0x0
	s_barrier_signal -1
	s_barrier_wait -1
	v_cmp_eq_u32_e64 s3, 15, v11
	v_subrev_nc_u32_e32 v11, 32, v4
	global_inv scope:SCOPE_SE
	s_and_saveexec_b32 s4, s3
	s_cbranch_execz .LBB6_12
; %bb.11:
	ds_load_b32 v12, v10
	ds_load_b32 v13, v11
	;; [unrolled: 1-line block ×4, first 2 shown]
	s_wait_dscnt 0x1
	v_add_nc_u32_e32 v12, v14, v12
	s_wait_dscnt 0x0
	v_add_nc_u32_e32 v13, v15, v13
	ds_store_b32 v3, v12
	ds_store_b32 v4, v13
.LBB6_12:
	s_or_b32 exec_lo, exec_lo, s4
	v_and_b32_e32 v13, 31, v0
	v_subrev_nc_u32_e32 v12, 64, v3
	s_wait_loadcnt_dscnt 0x0
	s_barrier_signal -1
	s_barrier_wait -1
	v_cmp_eq_u32_e64 s4, 31, v13
	v_subrev_nc_u32_e32 v13, 64, v4
	global_inv scope:SCOPE_SE
	s_and_saveexec_b32 s5, s4
	s_cbranch_execz .LBB6_14
; %bb.13:
	ds_load_b32 v14, v12
	ds_load_b32 v15, v13
	;; [unrolled: 1-line block ×4, first 2 shown]
	s_wait_dscnt 0x1
	v_add_nc_u32_e32 v14, v16, v14
	s_wait_dscnt 0x0
	v_add_nc_u32_e32 v15, v17, v15
	ds_store_b32 v3, v14
	ds_store_b32 v4, v15
.LBB6_14:
	s_or_b32 exec_lo, exec_lo, s5
	v_and_b32_e32 v15, 63, v0
	v_add_nc_u32_e32 v14, 0xffffff80, v3
	s_wait_loadcnt_dscnt 0x0
	s_barrier_signal -1
	s_barrier_wait -1
	v_cmp_eq_u32_e64 s5, 63, v15
	v_add_nc_u32_e32 v15, 0xffffff80, v4
	global_inv scope:SCOPE_SE
	s_and_saveexec_b32 s6, s5
	s_cbranch_execz .LBB6_16
; %bb.15:
	ds_load_b32 v16, v14
	ds_load_b32 v17, v15
	;; [unrolled: 1-line block ×4, first 2 shown]
	s_wait_dscnt 0x1
	v_add_nc_u32_e32 v16, v18, v16
	s_wait_dscnt 0x0
	v_add_nc_u32_e32 v17, v19, v17
	ds_store_b32 v3, v16
	ds_store_b32 v4, v17
.LBB6_16:
	s_or_b32 exec_lo, exec_lo, s6
	v_and_b32_e32 v17, 0x7f, v0
	v_add_nc_u32_e32 v16, 0xffffff00, v3
	s_wait_loadcnt_dscnt 0x0
	s_barrier_signal -1
	s_barrier_wait -1
	v_cmp_eq_u32_e64 s6, 0x7f, v17
	v_add_nc_u32_e32 v17, 0xffffff00, v4
	global_inv scope:SCOPE_SE
	s_and_saveexec_b32 s7, s6
	s_cbranch_execz .LBB6_18
; %bb.17:
	ds_load_b32 v18, v16
	ds_load_b32 v19, v17
	;; [unrolled: 1-line block ×4, first 2 shown]
	s_wait_dscnt 0x1
	v_add_nc_u32_e32 v18, v20, v18
	s_wait_dscnt 0x0
	v_add_nc_u32_e32 v19, v21, v19
	ds_store_b32 v3, v18
	ds_store_b32 v4, v19
.LBB6_18:
	s_or_b32 exec_lo, exec_lo, s7
	s_wait_loadcnt_dscnt 0x0
	s_barrier_signal -1
	s_barrier_wait -1
	global_inv scope:SCOPE_SE
	s_and_saveexec_b32 s7, s6
	s_cbranch_execz .LBB6_20
; %bb.19:
	ds_load_b32 v18, v3
	ds_load_b32 v20, v4
	v_mov_b32_e32 v21, 0
	s_wait_dscnt 0x1
	v_mov_b32_e32 v19, v18
	s_wait_dscnt 0x0
	ds_store_2addr_b32 v21, v20, v20 offset0:128 offset1:131
	ds_store_b64 v21, v[18:19] offset:1040
	ds_store_b32 v3, v21
	ds_store_b32 v4, v21
.LBB6_20:
	s_or_b32 exec_lo, exec_lo, s7
	s_and_saveexec_b32 s7, s6
	s_cbranch_execz .LBB6_22
; %bb.21:
	ds_load_b32 v18, v16
	ds_load_b32 v19, v17
	ds_load_b32 v20, v3
	ds_load_b32 v21, v4
	s_wait_dscnt 0x1
	v_add_nc_u32_e32 v18, v20, v18
	s_wait_dscnt 0x0
	v_add_nc_u32_e32 v19, v21, v19
	ds_store_b32 v16, v20
	ds_store_b32 v17, v21
	ds_store_b32 v3, v18
	ds_store_b32 v4, v19
.LBB6_22:
	s_or_b32 exec_lo, exec_lo, s7
	s_wait_loadcnt_dscnt 0x0
	s_barrier_signal -1
	s_barrier_wait -1
	global_inv scope:SCOPE_SE
	s_and_saveexec_b32 s6, s5
	s_cbranch_execz .LBB6_24
; %bb.23:
	ds_load_b32 v16, v14
	ds_load_b32 v17, v15
	ds_load_b32 v18, v3
	ds_load_b32 v19, v4
	s_wait_dscnt 0x1
	v_add_nc_u32_e32 v16, v18, v16
	s_wait_dscnt 0x0
	v_add_nc_u32_e32 v17, v19, v17
	ds_store_b32 v14, v18
	ds_store_b32 v15, v19
	ds_store_b32 v3, v16
	ds_store_b32 v4, v17
.LBB6_24:
	s_or_b32 exec_lo, exec_lo, s6
	s_wait_loadcnt_dscnt 0x0
	s_barrier_signal -1
	s_barrier_wait -1
	global_inv scope:SCOPE_SE
	;; [unrolled: 21-line block ×6, first 2 shown]
	s_and_saveexec_b32 s1, s0
	s_cbranch_execz .LBB6_34
; %bb.33:
	ds_load_2addr_b32 v[6:7], v2 offset1:1
	ds_load_2addr_b32 v[8:9], v5 offset1:1
	s_wait_dscnt 0x1
	v_add_nc_u32_e32 v6, v7, v6
	s_wait_dscnt 0x0
	v_add_nc_u32_e32 v8, v9, v8
	ds_store_2addr_b32 v2, v7, v6 offset1:1
	ds_store_2addr_b32 v5, v9, v8 offset1:1
.LBB6_34:
	s_wait_alu 0xfffe
	s_or_b32 exec_lo, exec_lo, s1
	v_cmp_eq_u32_e64 s0, 0, v0
	s_mov_b32 s3, 0
	s_wait_loadcnt_dscnt 0x0
	s_barrier_signal -1
	s_barrier_wait -1
	global_inv scope:SCOPE_SE
                                        ; implicit-def: $sgpr26_sgpr27
                                        ; implicit-def: $sgpr22_sgpr23
                                        ; implicit-def: $sgpr24_sgpr25
                                        ; implicit-def: $sgpr6_sgpr7
                                        ; implicit-def: $sgpr4_sgpr5
	s_and_saveexec_b32 s30, s0
	s_cbranch_execz .LBB6_40
; %bb.35:
	v_mov_b32_e32 v0, 0
	s_mov_b32 s6, exec_lo
	s_mov_b32 s2, s21
	v_mbcnt_lo_u32_b32 v5, s6, 0
	s_mul_u64 s[2:3], s[2:3], 20
	ds_load_b32 v2, v0 offset:1044
	s_add_nc_u64 s[4:5], s[14:15], s[2:3]
	s_mov_b32 s2, exec_lo
                                        ; implicit-def: $vgpr7
	v_cmpx_eq_u32_e32 0, v5
	s_cbranch_execz .LBB6_37
; %bb.36:
	s_bcnt1_i32_b32 s1, s6
	s_wait_dscnt 0x0
	s_wait_alu 0xfffe
	v_mul_lo_u32 v6, v2, s1
	global_atomic_add_u32 v7, v0, v6, s[4:5] th:TH_ATOMIC_RETURN scope:SCOPE_DEV
.LBB6_37:
	s_or_b32 exec_lo, exec_lo, s2
	ds_load_b32 v6, v0 offset:524
	s_wait_loadcnt 0x0
	v_readfirstlane_b32 s6, v7
	s_mov_b32 s2, exec_lo
	s_mov_b32 s3, exec_lo
	v_mbcnt_lo_u32_b32 v7, s2, 0
	s_wait_dscnt 0x1
	s_wait_alu 0xf1ff
	v_mad_co_u64_u32 v[8:9], null, v2, v5, s[6:7]
	s_add_nc_u64 s[6:7], s[4:5], 4
	ds_store_b32 v0, v8 offset:520
                                        ; implicit-def: $vgpr0
	s_wait_dscnt 0x1
	v_sub_nc_u32_e32 v2, 0, v6
	v_cmpx_eq_u32_e32 0, v7
	s_cbranch_execz .LBB6_39
; %bb.38:
	s_bcnt1_i32_b32 s1, s2
	v_mov_b32_e32 v5, 0
	s_wait_alu 0xfffe
	v_mul_lo_u32 v0, v2, s1
	global_atomic_add_u32 v0, v5, v0, s[6:7] th:TH_ATOMIC_RETURN scope:SCOPE_DEV
.LBB6_39:
	s_or_b32 exec_lo, exec_lo, s3
	s_wait_loadcnt 0x0
	v_readfirstlane_b32 s2, v0
	s_add_nc_u64 s[24:25], s[4:5], 8
	s_add_nc_u64 s[22:23], s[4:5], 12
	;; [unrolled: 1-line block ×3, first 2 shown]
	s_wait_alu 0xf1ff
	v_mad_co_u64_u32 v[7:8], null, v2, v7, s[2:3]
	v_mov_b32_e32 v2, 0
	s_delay_alu instid0(VALU_DEP_2)
	v_sub_nc_u32_e32 v0, v7, v6
	ds_store_b32 v2, v0 offset:516
.LBB6_40:
	s_or_b32 exec_lo, exec_lo, s30
	s_delay_alu instid0(SALU_CYCLE_1)
	s_and_b32 s1, s29, exec_lo
	s_cselect_b32 s3, s11, s9
	s_cselect_b32 s2, s10, s8
	s_wait_loadcnt_dscnt 0x0
	s_barrier_signal -1
	s_barrier_wait -1
	global_inv scope:SCOPE_SE
	s_and_saveexec_b32 s1, vcc_lo
	s_cbranch_execz .LBB6_47
; %bb.41:
	v_mov_b32_e32 v2, 0
	s_mov_b32 s10, 0
	ds_load_b32 v0, v4
	ds_load_2addr_b32 v[4:5], v2 offset0:129 offset1:130
	ds_load_b32 v6, v3
	s_wait_dscnt 0x1
	v_add_nc_u32_e32 v3, v0, v4
	s_wait_dscnt 0x0
	v_add_nc_u32_e32 v5, v6, v5
	s_branch .LBB6_43
.LBB6_42:                               ;   in Loop: Header=BB6_43 Depth=1
	s_or_b32 exec_lo, exec_lo, s11
	v_add_nc_u32_e32 v1, 0x80, v1
	s_delay_alu instid0(VALU_DEP_1) | instskip(SKIP_1) | instid1(SALU_CYCLE_1)
	v_cmp_le_u32_e32 vcc_lo, s17, v1
	s_or_b32 s10, vcc_lo, s10
	s_and_not1_b32 exec_lo, exec_lo, s10
	s_cbranch_execz .LBB6_47
.LBB6_43:                               ; =>This Inner Loop Header: Depth=1
	v_lshlrev_b64_e32 v[6:7], 3, v[1:2]
	s_mov_b32 s11, exec_lo
	s_delay_alu instid0(VALU_DEP_1) | instskip(SKIP_1) | instid1(VALU_DEP_2)
	v_add_co_u32 v6, vcc_lo, s28, v6
	s_wait_alu 0xfffd
	v_add_co_ci_u32_e64 v7, null, s16, v7, vcc_lo
	global_load_b64 v[6:7], v[6:7], off
	s_wait_loadcnt 0x0
	v_cvt_u32_f64_e32 v0, v[6:7]
	s_delay_alu instid0(VALU_DEP_1) | instskip(NEXT) | instid1(VALU_DEP_1)
	v_cvt_f64_u32_e32 v[7:8], v0
	v_cmpx_gt_f64_e32 s[18:19], v[7:8]
	s_cbranch_execz .LBB6_45
; %bb.44:                               ;   in Loop: Header=BB6_43 Depth=1
	v_mov_b32_e32 v6, v2
	s_delay_alu instid0(VALU_DEP_1) | instskip(SKIP_2) | instid1(VALU_DEP_2)
	v_lshlrev_b64_e32 v[9:10], 3, v[5:6]
	v_add_nc_u32_e32 v5, 1, v5
	s_wait_alu 0xfffe
	v_add_co_u32 v9, vcc_lo, s2, v9
	s_wait_alu 0xfffd
	s_delay_alu instid0(VALU_DEP_3)
	v_add_co_ci_u32_e64 v10, null, s3, v10, vcc_lo
	global_store_b64 v[9:10], v[7:8], off
.LBB6_45:                               ;   in Loop: Header=BB6_43 Depth=1
	s_or_b32 exec_lo, exec_lo, s11
	s_delay_alu instid0(SALU_CYCLE_1)
	s_mov_b32 s11, exec_lo
	v_cmpx_lt_f64_e32 s[18:19], v[7:8]
	s_cbranch_execz .LBB6_42
; %bb.46:                               ;   in Loop: Header=BB6_43 Depth=1
	v_mov_b32_e32 v4, v2
	s_delay_alu instid0(VALU_DEP_1) | instskip(SKIP_2) | instid1(VALU_DEP_2)
	v_lshlrev_b64_e32 v[9:10], 3, v[3:4]
	v_add_nc_u32_e32 v3, 1, v3
	s_wait_alu 0xfffe
	v_add_co_u32 v9, vcc_lo, s2, v9
	s_wait_alu 0xfffd
	s_delay_alu instid0(VALU_DEP_3)
	v_add_co_ci_u32_e64 v10, null, s3, v10, vcc_lo
	global_store_b64 v[9:10], v[7:8], off
	s_branch .LBB6_42
.LBB6_47:
	s_wait_alu 0xfffe
	s_or_b32 exec_lo, exec_lo, s1
	s_wait_loadcnt 0x0
	s_wait_storecnt 0x0
	s_barrier_signal -1
	s_barrier_wait -1
	global_inv scope:SCOPE_SE
	s_and_saveexec_b32 s1, s0
	s_cbranch_execz .LBB6_59
; %bb.48:
	s_mov_b32 s1, exec_lo
	s_mov_b32 s0, exec_lo
	s_wait_alu 0xfffe
	v_mbcnt_lo_u32_b32 v0, s1, 0
                                        ; implicit-def: $vgpr1
	s_delay_alu instid0(VALU_DEP_1)
	v_cmpx_eq_u32_e32 0, v0
	s_cbranch_execz .LBB6_50
; %bb.49:
	s_bcnt1_i32_b32 s1, s1
	s_wait_alu 0xfffe
	s_sub_co_i32 s1, 0, s1
	s_wait_alu 0xfffe
	v_dual_mov_b32 v1, 0 :: v_dual_mov_b32 v2, s1
	global_atomic_add_u32 v1, v1, v2, s[26:27] th:TH_ATOMIC_RETURN scope:SCOPE_DEV
.LBB6_50:
	s_or_b32 exec_lo, exec_lo, s0
	s_wait_loadcnt 0x0
	v_readfirstlane_b32 s0, v1
	s_wait_alu 0xf1ff
	s_delay_alu instid0(VALU_DEP_1) | instskip(NEXT) | instid1(VALU_DEP_1)
	v_sub_nc_u32_e32 v0, s0, v0
	v_cmp_eq_u32_e32 vcc_lo, 0, v0
	s_and_b32 exec_lo, exec_lo, vcc_lo
	s_cbranch_execz .LBB6_59
; %bb.51:
	v_mov_b32_e32 v2, 0
	s_clause 0x3
	global_load_b32 v0, v2, s[4:5]
	global_load_b32 v1, v2, s[6:7]
	;; [unrolled: 1-line block ×4, first 2 shown]
	s_wait_loadcnt 0x3
	v_readfirstlane_b32 s0, v0
	s_wait_loadcnt 0x2
	v_cmp_ge_u32_e32 vcc_lo, v0, v1
	v_readfirstlane_b32 s4, v1
	s_wait_loadcnt 0x1
	v_readfirstlane_b32 s6, v3
	s_wait_loadcnt 0x0
	v_readfirstlane_b32 s10, v4
	s_cbranch_vccnz .LBB6_54
; %bb.52:
	s_mov_b32 s1, 0
	v_dual_mov_b32 v0, s18 :: v_dual_mov_b32 v1, s19
	s_wait_alu 0xfffe
	s_lshl_b64 s[14:15], s[0:1], 3
	s_mov_b32 s1, s0
	s_add_nc_u64 s[8:9], s[8:9], s[14:15]
.LBB6_53:                               ; =>This Inner Loop Header: Depth=1
	s_wait_alu 0xfffe
	s_add_co_i32 s1, s1, 1
	global_store_b64 v2, v[0:1], s[8:9]
	s_wait_alu 0xfffe
	s_cmp_lt_u32 s1, s4
	s_add_nc_u64 s[8:9], s[8:9], 8
	s_cbranch_scc1 .LBB6_53
.LBB6_54:
	s_mov_b32 s7, 0
	s_wait_alu 0xfffe
	s_lshl_b64 s[8:9], s[6:7], 3
	s_delay_alu instid0(SALU_CYCLE_1) | instskip(SKIP_3) | instid1(SALU_CYCLE_1)
	s_add_nc_u64 s[8:9], s[2:3], s[8:9]
	global_load_b64 v[3:4], v2, s[8:9]
	s_add_co_i32 s8, s10, -1
	s_mov_b32 s9, s7
	s_lshl_b64 s[8:9], s[8:9], 3
	s_cmp_ge_u32 s6, s0
	s_add_nc_u64 s[8:9], s[2:3], s[8:9]
	global_load_b64 v[0:1], v2, s[8:9]
	s_wait_loadcnt 0x1
	v_cvt_u32_f64_e32 v2, v[3:4]
	s_cbranch_scc1 .LBB6_56
; %bb.55:
	s_add_co_i32 s1, s6, s0
	s_mov_b32 s9, s7
	s_wait_alu 0xfffe
	s_lshr_b32 s8, s1, 1
	v_mov_b32_e32 v5, 0
	s_lshl_b64 s[8:9], s[8:9], 3
	s_add_co_i32 s14, s0, -1
	s_add_nc_u64 s[8:9], s[2:3], s[8:9]
	s_mov_b32 s15, s7
	global_load_b64 v[3:4], v5, s[8:9]
	s_lshl_b64 s[8:9], s[14:15], 3
	s_delay_alu instid0(SALU_CYCLE_1)
	s_add_nc_u64 s[8:9], s[2:3], s[8:9]
	global_load_b64 v[5:6], v5, s[8:9]
	s_wait_loadcnt 0x1
	v_cvt_u32_f64_e32 v3, v[3:4]
	s_wait_loadcnt 0x0
	v_cvt_u32_f64_e32 v4, v[5:6]
	s_delay_alu instid0(VALU_DEP_2) | instskip(SKIP_1) | instid1(VALU_DEP_2)
	v_min_u32_e32 v5, v2, v3
	v_max_u32_e32 v2, v2, v3
	v_max_u32_e32 v3, v5, v4
	s_delay_alu instid0(VALU_DEP_2) | instskip(SKIP_1) | instid1(VALU_DEP_2)
	v_cmp_lt_u32_e32 vcc_lo, v2, v4
	s_wait_alu 0xfffd
	v_cndmask_b32_e32 v2, v3, v2, vcc_lo
.LBB6_56:
	s_wait_loadcnt 0x0
	v_cvt_u32_f64_e32 v0, v[0:1]
	s_cmp_ge_u32 s4, s10
	s_cbranch_scc1 .LBB6_58
; %bb.57:
	s_mov_b32 s5, 0
	s_add_co_i32 s1, s10, s4
	v_mov_b32_e32 v1, 0
	s_wait_alu 0xfffe
	s_lshr_b32 s8, s1, 1
	s_mov_b32 s9, s5
	s_lshl_b64 s[14:15], s[4:5], 3
	s_lshl_b64 s[8:9], s[8:9], 3
	s_add_nc_u64 s[14:15], s[2:3], s[14:15]
	s_add_nc_u64 s[2:3], s[2:3], s[8:9]
	s_clause 0x1
	global_load_b64 v[3:4], v1, s[14:15]
	global_load_b64 v[5:6], v1, s[2:3]
	s_wait_loadcnt 0x1
	v_cvt_u32_f64_e32 v1, v[3:4]
	s_wait_loadcnt 0x0
	v_cvt_u32_f64_e32 v3, v[5:6]
	s_delay_alu instid0(VALU_DEP_1) | instskip(SKIP_1) | instid1(VALU_DEP_2)
	v_min_u32_e32 v4, v1, v3
	v_max_u32_e32 v1, v1, v3
	v_max_u32_e32 v3, v4, v0
	s_delay_alu instid0(VALU_DEP_2) | instskip(SKIP_1) | instid1(VALU_DEP_2)
	v_cmp_lt_u32_e32 vcc_lo, v1, v0
	s_wait_alu 0xfffd
	v_cndmask_b32_e32 v0, v3, v1, vcc_lo
.LBB6_58:
	s_delay_alu instid0(VALU_DEP_2) | instskip(NEXT) | instid1(VALU_DEP_2)
	v_cvt_f64_u32_e32 v[2:3], v2
	v_cvt_f64_u32_e32 v[6:7], v0
	s_lshl_b32 s2, ttmp9, 1
	s_mov_b32 s3, 0
	s_xor_b32 s1, s20, 1
	v_dual_mov_b32 v8, 0 :: v_dual_mov_b32 v1, s0
	s_wait_alu 0xfffe
	v_dual_mov_b32 v0, s6 :: v_dual_mov_b32 v9, s1
	s_mul_u64 s[2:3], s[2:3], 24
	v_dual_mov_b32 v4, s4 :: v_dual_mov_b32 v5, s10
	s_wait_alu 0xfffe
	s_add_nc_u64 s[0:1], s[12:13], s[2:3]
	s_clause 0x3
	global_store_b128 v8, v[0:3], s[0:1]
	global_store_b32 v8, v9, s[0:1] offset:16
	global_store_b128 v8, v[4:7], s[0:1] offset:24
	global_store_b32 v8, v9, s[0:1] offset:40
.LBB6_59:
	s_endpgm
	.section	.rodata,"a",@progbits
	.p2align	6, 0x0
	.amdhsa_kernel _Z13gqsort_kernelIdEvPT_S1_P12block_recordIS0_EP13parent_recordP11work_recordIS0_E
		.amdhsa_group_segment_fixed_size 1048
		.amdhsa_private_segment_fixed_size 0
		.amdhsa_kernarg_size 40
		.amdhsa_user_sgpr_count 2
		.amdhsa_user_sgpr_dispatch_ptr 0
		.amdhsa_user_sgpr_queue_ptr 0
		.amdhsa_user_sgpr_kernarg_segment_ptr 1
		.amdhsa_user_sgpr_dispatch_id 0
		.amdhsa_user_sgpr_private_segment_size 0
		.amdhsa_wavefront_size32 1
		.amdhsa_uses_dynamic_stack 0
		.amdhsa_enable_private_segment 0
		.amdhsa_system_sgpr_workgroup_id_x 1
		.amdhsa_system_sgpr_workgroup_id_y 0
		.amdhsa_system_sgpr_workgroup_id_z 0
		.amdhsa_system_sgpr_workgroup_info 0
		.amdhsa_system_vgpr_workitem_id 0
		.amdhsa_next_free_vgpr 22
		.amdhsa_next_free_sgpr 31
		.amdhsa_reserve_vcc 1
		.amdhsa_float_round_mode_32 0
		.amdhsa_float_round_mode_16_64 0
		.amdhsa_float_denorm_mode_32 3
		.amdhsa_float_denorm_mode_16_64 3
		.amdhsa_fp16_overflow 0
		.amdhsa_workgroup_processor_mode 1
		.amdhsa_memory_ordered 1
		.amdhsa_forward_progress 1
		.amdhsa_inst_pref_size 27
		.amdhsa_round_robin_scheduling 0
		.amdhsa_exception_fp_ieee_invalid_op 0
		.amdhsa_exception_fp_denorm_src 0
		.amdhsa_exception_fp_ieee_div_zero 0
		.amdhsa_exception_fp_ieee_overflow 0
		.amdhsa_exception_fp_ieee_underflow 0
		.amdhsa_exception_fp_ieee_inexact 0
		.amdhsa_exception_int_div_zero 0
	.end_amdhsa_kernel
	.section	.text._Z13gqsort_kernelIdEvPT_S1_P12block_recordIS0_EP13parent_recordP11work_recordIS0_E,"axG",@progbits,_Z13gqsort_kernelIdEvPT_S1_P12block_recordIS0_EP13parent_recordP11work_recordIS0_E,comdat
.Lfunc_end6:
	.size	_Z13gqsort_kernelIdEvPT_S1_P12block_recordIS0_EP13parent_recordP11work_recordIS0_E, .Lfunc_end6-_Z13gqsort_kernelIdEvPT_S1_P12block_recordIS0_EP13parent_recordP11work_recordIS0_E
                                        ; -- End function
	.set _Z13gqsort_kernelIdEvPT_S1_P12block_recordIS0_EP13parent_recordP11work_recordIS0_E.num_vgpr, 22
	.set _Z13gqsort_kernelIdEvPT_S1_P12block_recordIS0_EP13parent_recordP11work_recordIS0_E.num_agpr, 0
	.set _Z13gqsort_kernelIdEvPT_S1_P12block_recordIS0_EP13parent_recordP11work_recordIS0_E.numbered_sgpr, 31
	.set _Z13gqsort_kernelIdEvPT_S1_P12block_recordIS0_EP13parent_recordP11work_recordIS0_E.num_named_barrier, 0
	.set _Z13gqsort_kernelIdEvPT_S1_P12block_recordIS0_EP13parent_recordP11work_recordIS0_E.private_seg_size, 0
	.set _Z13gqsort_kernelIdEvPT_S1_P12block_recordIS0_EP13parent_recordP11work_recordIS0_E.uses_vcc, 1
	.set _Z13gqsort_kernelIdEvPT_S1_P12block_recordIS0_EP13parent_recordP11work_recordIS0_E.uses_flat_scratch, 0
	.set _Z13gqsort_kernelIdEvPT_S1_P12block_recordIS0_EP13parent_recordP11work_recordIS0_E.has_dyn_sized_stack, 0
	.set _Z13gqsort_kernelIdEvPT_S1_P12block_recordIS0_EP13parent_recordP11work_recordIS0_E.has_recursion, 0
	.set _Z13gqsort_kernelIdEvPT_S1_P12block_recordIS0_EP13parent_recordP11work_recordIS0_E.has_indirect_call, 0
	.section	.AMDGPU.csdata,"",@progbits
; Kernel info:
; codeLenInByte = 3432
; TotalNumSgprs: 33
; NumVgprs: 22
; ScratchSize: 0
; MemoryBound: 0
; FloatMode: 240
; IeeeMode: 1
; LDSByteSize: 1048 bytes/workgroup (compile time only)
; SGPRBlocks: 0
; VGPRBlocks: 2
; NumSGPRsForWavesPerEU: 33
; NumVGPRsForWavesPerEU: 22
; Occupancy: 16
; WaveLimiterHint : 1
; COMPUTE_PGM_RSRC2:SCRATCH_EN: 0
; COMPUTE_PGM_RSRC2:USER_SGPR: 2
; COMPUTE_PGM_RSRC2:TRAP_HANDLER: 0
; COMPUTE_PGM_RSRC2:TGID_X_EN: 1
; COMPUTE_PGM_RSRC2:TGID_Y_EN: 0
; COMPUTE_PGM_RSRC2:TGID_Z_EN: 0
; COMPUTE_PGM_RSRC2:TIDIG_COMP_CNT: 0
	.text
	.p2align	2                               ; -- Begin function _Z14sort_thresholdIdEvPT_S1_jjS1_j
	.type	_Z14sort_thresholdIdEvPT_S1_jjS1_j,@function
_Z14sort_thresholdIdEvPT_S1_jjS1_j:     ; @_Z14sort_thresholdIdEvPT_S1_jjS1_j
; %bb.0:
	s_wait_loadcnt_dscnt 0x0
	s_wait_expcnt 0x0
	s_wait_samplecnt 0x0
	s_wait_bvhcnt 0x0
	s_wait_kmcnt 0x0
	v_sub_nc_u32_e32 v5, v5, v4
	s_mov_b32 s0, exec_lo
	s_delay_alu instid0(VALU_DEP_1)
	v_cmpx_ne_u32_e32 0x100, v5
	s_wait_alu 0xfffe
	s_xor_b32 s1, exec_lo, s0
	s_cbranch_execnz .LBB7_3
; %bb.1:
	s_wait_alu 0xfffe
	s_and_not1_saveexec_b32 s1, s1
	s_cbranch_execnz .LBB7_18
.LBB7_2:
	s_wait_alu 0xfffe
	s_or_b32 exec_lo, exec_lo, s1
	s_wait_loadcnt_dscnt 0x0
	s_setpc_b64 s[30:31]
.LBB7_3:
	s_mov_b32 s0, exec_lo
	v_cmpx_gt_u32_e32 2, v5
	s_wait_alu 0xfffe
	s_xor_b32 s2, exec_lo, s0
	s_cbranch_execz .LBB7_7
; %bb.4:
	v_cmp_eq_u32_e32 vcc_lo, 1, v5
	v_cmp_eq_u32_e64 s0, 0, v6
	s_and_b32 s3, vcc_lo, s0
	s_wait_alu 0xfffe
	s_and_saveexec_b32 s0, s3
	s_cbranch_execz .LBB7_6
; %bb.5:
	v_mov_b32_e32 v5, 0
	s_delay_alu instid0(VALU_DEP_1) | instskip(NEXT) | instid1(VALU_DEP_1)
	v_lshlrev_b64_e32 v[4:5], 3, v[4:5]
	v_add_co_u32 v0, vcc_lo, v0, v4
	s_wait_alu 0xfffd
	s_delay_alu instid0(VALU_DEP_2)
	v_add_co_ci_u32_e64 v1, null, v1, v5, vcc_lo
	v_add_co_u32 v2, vcc_lo, v2, v4
	s_wait_alu 0xfffd
	v_add_co_ci_u32_e64 v3, null, v3, v5, vcc_lo
	flat_load_b64 v[0:1], v[0:1]
	s_wait_loadcnt_dscnt 0x0
	flat_store_b64 v[2:3], v[0:1]
.LBB7_6:
	s_wait_alu 0xfffe
	s_or_b32 exec_lo, exec_lo, s0
                                        ; implicit-def: $vgpr6
                                        ; implicit-def: $vgpr5
                                        ; implicit-def: $vgpr4
                                        ; implicit-def: $vgpr2
                                        ; implicit-def: $vgpr3
                                        ; implicit-def: $vgpr0
                                        ; implicit-def: $vgpr1
.LBB7_7:
	s_wait_alu 0xfffe
	s_and_not1_saveexec_b32 s2, s2
	s_cbranch_execz .LBB7_17
; %bb.8:
	v_lshl_add_u32 v13, v6, 3, 0x6c00
	s_mov_b32 s0, exec_lo
	v_cmpx_gt_u32_e32 0x100, v6
	s_cbranch_execz .LBB7_13
; %bb.9:
	v_lshl_add_u32 v14, v6, 3, 0x6c00
	v_dual_mov_b32 v7, 0xffe00000 :: v_dual_mov_b32 v10, 0
	v_dual_mov_b32 v8, 0x41efffff :: v_dual_mov_b32 v15, v6
	s_mov_b32 s3, 0
	s_branch .LBB7_11
.LBB7_10:                               ;   in Loop: Header=BB7_11 Depth=1
	s_wait_alu 0xfffe
	s_or_b32 exec_lo, exec_lo, s4
	v_add_nc_u32_e32 v9, 0x80, v15
	v_cmp_lt_u32_e32 vcc_lo, 0x7f, v15
	s_wait_loadcnt_dscnt 0x0
	ds_store_b64 v14, v[11:12]
	v_dual_mov_b32 v15, v9 :: v_dual_add_nc_u32 v14, 0x400, v14
	s_or_b32 s3, vcc_lo, s3
	s_wait_alu 0xfffe
	s_and_not1_b32 exec_lo, exec_lo, s3
	s_cbranch_execz .LBB7_13
.LBB7_11:                               ; =>This Inner Loop Header: Depth=1
	s_delay_alu instid0(VALU_DEP_1)
	v_dual_mov_b32 v12, v8 :: v_dual_mov_b32 v11, v7
	s_mov_b32 s4, exec_lo
	v_cmpx_lt_u32_e64 v15, v5
	s_cbranch_execz .LBB7_10
; %bb.12:                               ;   in Loop: Header=BB7_11 Depth=1
	v_add_nc_u32_e32 v9, v4, v15
	s_delay_alu instid0(VALU_DEP_1) | instskip(NEXT) | instid1(VALU_DEP_1)
	v_lshlrev_b64_e32 v[11:12], 3, v[9:10]
	v_add_co_u32 v11, vcc_lo, v0, v11
	s_wait_alu 0xfffd
	s_delay_alu instid0(VALU_DEP_2)
	v_add_co_ci_u32_e64 v12, null, v1, v12, vcc_lo
	flat_load_b64 v[11:12], v[11:12]
	s_branch .LBB7_10
.LBB7_13:
	s_wait_alu 0xfffe
	s_or_b32 exec_lo, exec_lo, s0
	v_and_b32_e32 v14, 1, v6
	s_wait_storecnt_dscnt 0x0
	s_barrier_signal -1
	s_barrier_wait -1
	global_inv scope:SCOPE_SE
	v_cmp_eq_u32_e32 vcc_lo, 0, v14
	v_lshlrev_b32_e32 v0, 4, v6
	s_mov_b32 s3, 0
	s_mov_b32 s4, exec_lo
	ds_load_b128 v[7:10], v0 offset:27648
	s_wait_dscnt 0x0
	v_cvt_u32_f64_e32 v1, v[7:8]
	v_cvt_u32_f64_e32 v7, v[9:10]
	s_delay_alu instid0(VALU_DEP_1) | instskip(SKIP_2) | instid1(VALU_DEP_1)
	v_max_u32_e32 v8, v1, v7
	v_min_u32_e32 v1, v1, v7
	s_wait_alu 0xfffd
	v_cndmask_b32_e32 v7, v8, v1, vcc_lo
	v_dual_cndmask_b32 v1, v1, v8 :: v_dual_lshlrev_b32 v8, 1, v6
	s_delay_alu instid0(VALU_DEP_2) | instskip(NEXT) | instid1(VALU_DEP_2)
	v_cvt_f64_u32_e32 v[9:10], v7
	v_cvt_f64_u32_e32 v[11:12], v1
	s_delay_alu instid0(VALU_DEP_3) | instskip(NEXT) | instid1(VALU_DEP_1)
	v_sub_nc_u32_e32 v1, v8, v14
	v_lshlrev_b32_e32 v1, 3, v1
	s_delay_alu instid0(VALU_DEP_1)
	v_add_nc_u32_e32 v1, 0x6800, v1
	ds_store_b128 v0, v[9:12] offset:27648
	s_wait_loadcnt_dscnt 0x0
	s_barrier_signal -1
	s_barrier_wait -1
	global_inv scope:SCOPE_SE
	ds_load_2addr_b64 v[9:12], v1 offset0:128 offset1:130
	s_wait_dscnt 0x0
	v_cvt_u32_f64_e32 v7, v[9:10]
	v_cvt_u32_f64_e32 v9, v[11:12]
	s_delay_alu instid0(VALU_DEP_1) | instskip(SKIP_2) | instid1(VALU_DEP_1)
	v_max_u32_e32 v11, v7, v9
	v_min_u32_e32 v7, v7, v9
	v_and_b32_e32 v10, 2, v6
	v_cmp_eq_u32_e32 vcc_lo, 0, v10
	s_wait_alu 0xfffd
	s_delay_alu instid0(VALU_DEP_3) | instskip(SKIP_1) | instid1(VALU_DEP_2)
	v_cndmask_b32_e32 v9, v11, v7, vcc_lo
	v_cndmask_b32_e32 v7, v7, v11, vcc_lo
	v_cvt_f64_u32_e32 v[9:10], v9
	s_delay_alu instid0(VALU_DEP_2)
	v_cvt_f64_u32_e32 v[11:12], v7
	ds_store_2addr_b64 v1, v[9:10], v[11:12] offset0:128 offset1:130
	s_wait_loadcnt_dscnt 0x0
	s_barrier_signal -1
	s_barrier_wait -1
	global_inv scope:SCOPE_SE
	ds_load_b128 v[9:12], v0 offset:27648
	s_wait_dscnt 0x0
	v_cvt_u32_f64_e32 v7, v[9:10]
	v_cvt_u32_f64_e32 v9, v[11:12]
	s_delay_alu instid0(VALU_DEP_1) | instskip(SKIP_1) | instid1(VALU_DEP_1)
	v_max_u32_e32 v10, v7, v9
	v_min_u32_e32 v7, v7, v9
	v_cndmask_b32_e32 v9, v10, v7, vcc_lo
	v_cndmask_b32_e32 v7, v7, v10, vcc_lo
	s_delay_alu instid0(VALU_DEP_2) | instskip(NEXT) | instid1(VALU_DEP_2)
	v_cvt_f64_u32_e32 v[9:10], v9
	v_cvt_f64_u32_e32 v[11:12], v7
	v_and_b32_e32 v7, 3, v6
	s_delay_alu instid0(VALU_DEP_1) | instskip(NEXT) | instid1(VALU_DEP_1)
	v_sub_nc_u32_e32 v7, v8, v7
	v_lshlrev_b32_e32 v7, 3, v7
	s_delay_alu instid0(VALU_DEP_1)
	v_add_nc_u32_e32 v7, 0x6800, v7
	ds_store_b128 v0, v[9:12] offset:27648
	s_wait_loadcnt_dscnt 0x0
	s_barrier_signal -1
	s_barrier_wait -1
	global_inv scope:SCOPE_SE
	ds_load_2addr_b64 v[9:12], v7 offset0:128 offset1:132
	s_wait_dscnt 0x0
	v_cvt_u32_f64_e32 v9, v[9:10]
	v_cvt_u32_f64_e32 v10, v[11:12]
	v_and_b32_e32 v11, 4, v6
	s_delay_alu instid0(VALU_DEP_1) | instskip(NEXT) | instid1(VALU_DEP_3)
	v_cmp_eq_u32_e32 vcc_lo, 0, v11
	v_max_u32_e32 v12, v9, v10
	v_min_u32_e32 v9, v9, v10
	s_wait_alu 0xfffd
	s_delay_alu instid0(VALU_DEP_1) | instskip(NEXT) | instid1(VALU_DEP_1)
	v_dual_cndmask_b32 v10, v12, v9 :: v_dual_cndmask_b32 v11, v9, v12
	v_cvt_f64_u32_e32 v[9:10], v10
	s_delay_alu instid0(VALU_DEP_2)
	v_cvt_f64_u32_e32 v[11:12], v11
	ds_store_2addr_b64 v7, v[9:10], v[11:12] offset0:128 offset1:132
	s_wait_loadcnt_dscnt 0x0
	s_barrier_signal -1
	s_barrier_wait -1
	global_inv scope:SCOPE_SE
	ds_load_2addr_b64 v[9:12], v1 offset0:128 offset1:130
	s_wait_dscnt 0x0
	v_cvt_u32_f64_e32 v9, v[9:10]
	v_cvt_u32_f64_e32 v10, v[11:12]
	s_delay_alu instid0(VALU_DEP_1) | instskip(SKIP_1) | instid1(VALU_DEP_1)
	v_max_u32_e32 v11, v9, v10
	v_min_u32_e32 v9, v9, v10
	v_dual_cndmask_b32 v10, v11, v9 :: v_dual_cndmask_b32 v11, v9, v11
	s_delay_alu instid0(VALU_DEP_1) | instskip(NEXT) | instid1(VALU_DEP_2)
	v_cvt_f64_u32_e32 v[9:10], v10
	v_cvt_f64_u32_e32 v[11:12], v11
	ds_store_2addr_b64 v1, v[9:10], v[11:12] offset0:128 offset1:130
	s_wait_loadcnt_dscnt 0x0
	s_barrier_signal -1
	s_barrier_wait -1
	global_inv scope:SCOPE_SE
	ds_load_b128 v[9:12], v0 offset:27648
	s_wait_dscnt 0x0
	v_cvt_u32_f64_e32 v9, v[9:10]
	v_cvt_u32_f64_e32 v10, v[11:12]
	v_and_b32_e32 v12, 8, v6
	s_delay_alu instid0(VALU_DEP_2) | instskip(SKIP_1) | instid1(VALU_DEP_1)
	v_max_u32_e32 v11, v9, v10
	v_min_u32_e32 v9, v9, v10
	v_dual_cndmask_b32 v10, v11, v9 :: v_dual_cndmask_b32 v9, v9, v11
	s_delay_alu instid0(VALU_DEP_4) | instskip(NEXT) | instid1(VALU_DEP_2)
	v_cmp_eq_u32_e32 vcc_lo, 0, v12
	v_cvt_f64_u32_e32 v[14:15], v10
	s_delay_alu instid0(VALU_DEP_3) | instskip(SKIP_1) | instid1(VALU_DEP_1)
	v_cvt_f64_u32_e32 v[16:17], v9
	v_and_b32_e32 v9, 7, v6
	v_sub_nc_u32_e32 v9, v8, v9
	s_delay_alu instid0(VALU_DEP_1) | instskip(NEXT) | instid1(VALU_DEP_1)
	v_lshlrev_b32_e32 v9, 3, v9
	v_add_nc_u32_e32 v9, 0x6800, v9
	ds_store_b128 v0, v[14:17] offset:27648
	s_wait_loadcnt_dscnt 0x0
	s_barrier_signal -1
	s_barrier_wait -1
	global_inv scope:SCOPE_SE
	ds_load_2addr_b64 v[14:17], v9 offset0:128 offset1:136
	s_wait_dscnt 0x0
	v_cvt_u32_f64_e32 v10, v[14:15]
	v_cvt_u32_f64_e32 v11, v[16:17]
	s_delay_alu instid0(VALU_DEP_1) | instskip(SKIP_2) | instid1(VALU_DEP_1)
	v_max_u32_e32 v14, v10, v11
	v_min_u32_e32 v10, v10, v11
	s_wait_alu 0xfffd
	v_cndmask_b32_e32 v11, v14, v10, vcc_lo
	v_cndmask_b32_e32 v12, v10, v14, vcc_lo
	s_delay_alu instid0(VALU_DEP_2) | instskip(NEXT) | instid1(VALU_DEP_2)
	v_cvt_f64_u32_e32 v[10:11], v11
	v_cvt_f64_u32_e32 v[14:15], v12
	ds_store_2addr_b64 v9, v[10:11], v[14:15] offset0:128 offset1:136
	s_wait_loadcnt_dscnt 0x0
	s_barrier_signal -1
	s_barrier_wait -1
	global_inv scope:SCOPE_SE
	ds_load_2addr_b64 v[14:17], v7 offset0:128 offset1:132
	s_wait_dscnt 0x0
	v_cvt_u32_f64_e32 v10, v[14:15]
	v_cvt_u32_f64_e32 v11, v[16:17]
	s_delay_alu instid0(VALU_DEP_1) | instskip(SKIP_1) | instid1(VALU_DEP_1)
	v_max_u32_e32 v12, v10, v11
	v_min_u32_e32 v10, v10, v11
	v_dual_cndmask_b32 v11, v12, v10 :: v_dual_cndmask_b32 v12, v10, v12
	s_delay_alu instid0(VALU_DEP_1) | instskip(NEXT) | instid1(VALU_DEP_2)
	v_cvt_f64_u32_e32 v[10:11], v11
	v_cvt_f64_u32_e32 v[14:15], v12
	ds_store_2addr_b64 v7, v[10:11], v[14:15] offset0:128 offset1:132
	s_wait_loadcnt_dscnt 0x0
	s_barrier_signal -1
	s_barrier_wait -1
	global_inv scope:SCOPE_SE
	ds_load_2addr_b64 v[14:17], v1 offset0:128 offset1:130
	s_wait_dscnt 0x0
	v_cvt_u32_f64_e32 v10, v[14:15]
	v_cvt_u32_f64_e32 v11, v[16:17]
	s_delay_alu instid0(VALU_DEP_1) | instskip(SKIP_1) | instid1(VALU_DEP_1)
	v_max_u32_e32 v12, v10, v11
	v_min_u32_e32 v10, v10, v11
	v_dual_cndmask_b32 v11, v12, v10 :: v_dual_cndmask_b32 v12, v10, v12
	s_delay_alu instid0(VALU_DEP_1) | instskip(NEXT) | instid1(VALU_DEP_2)
	v_cvt_f64_u32_e32 v[10:11], v11
	v_cvt_f64_u32_e32 v[14:15], v12
	ds_store_2addr_b64 v1, v[10:11], v[14:15] offset0:128 offset1:130
	s_wait_loadcnt_dscnt 0x0
	s_barrier_signal -1
	s_barrier_wait -1
	global_inv scope:SCOPE_SE
	ds_load_b128 v[14:17], v0 offset:27648
	s_wait_dscnt 0x0
	v_cvt_u32_f64_e32 v10, v[14:15]
	v_cvt_u32_f64_e32 v11, v[16:17]
	s_delay_alu instid0(VALU_DEP_1) | instskip(SKIP_1) | instid1(VALU_DEP_1)
	v_max_u32_e32 v12, v10, v11
	v_min_u32_e32 v10, v10, v11
	v_dual_cndmask_b32 v11, v12, v10 :: v_dual_cndmask_b32 v10, v10, v12
	s_delay_alu instid0(VALU_DEP_1) | instskip(NEXT) | instid1(VALU_DEP_2)
	v_cvt_f64_u32_e32 v[14:15], v11
	v_cvt_f64_u32_e32 v[16:17], v10
	v_and_b32_e32 v10, 15, v6
	s_delay_alu instid0(VALU_DEP_1) | instskip(NEXT) | instid1(VALU_DEP_1)
	v_sub_nc_u32_e32 v10, v8, v10
	v_lshlrev_b32_e32 v10, 3, v10
	s_delay_alu instid0(VALU_DEP_1)
	v_add_nc_u32_e32 v12, 0x6800, v10
	ds_store_b128 v0, v[14:17] offset:27648
	s_wait_loadcnt_dscnt 0x0
	s_barrier_signal -1
	s_barrier_wait -1
	global_inv scope:SCOPE_SE
	ds_load_2addr_b64 v[14:17], v12 offset0:128 offset1:144
	s_wait_dscnt 0x0
	v_cvt_u32_f64_e32 v10, v[14:15]
	v_cvt_u32_f64_e32 v11, v[16:17]
	v_and_b32_e32 v14, 16, v6
	s_delay_alu instid0(VALU_DEP_1) | instskip(NEXT) | instid1(VALU_DEP_3)
	v_cmp_eq_u32_e32 vcc_lo, 0, v14
	v_max_u32_e32 v15, v10, v11
	v_min_u32_e32 v10, v10, v11
	s_wait_alu 0xfffd
	s_delay_alu instid0(VALU_DEP_1) | instskip(NEXT) | instid1(VALU_DEP_1)
	v_dual_cndmask_b32 v11, v15, v10 :: v_dual_cndmask_b32 v14, v10, v15
	v_cvt_f64_u32_e32 v[10:11], v11
	s_delay_alu instid0(VALU_DEP_2)
	v_cvt_f64_u32_e32 v[14:15], v14
	ds_store_2addr_b64 v12, v[10:11], v[14:15] offset0:128 offset1:144
	s_wait_loadcnt_dscnt 0x0
	s_barrier_signal -1
	s_barrier_wait -1
	global_inv scope:SCOPE_SE
	ds_load_2addr_b64 v[14:17], v9 offset0:128 offset1:136
	s_wait_dscnt 0x0
	v_cvt_u32_f64_e32 v10, v[14:15]
	v_cvt_u32_f64_e32 v11, v[16:17]
	s_delay_alu instid0(VALU_DEP_1) | instskip(SKIP_1) | instid1(VALU_DEP_1)
	v_max_u32_e32 v14, v10, v11
	v_min_u32_e32 v10, v10, v11
	v_cndmask_b32_e32 v11, v14, v10, vcc_lo
	v_cndmask_b32_e32 v14, v10, v14, vcc_lo
	s_delay_alu instid0(VALU_DEP_2) | instskip(NEXT) | instid1(VALU_DEP_2)
	v_cvt_f64_u32_e32 v[10:11], v11
	v_cvt_f64_u32_e32 v[14:15], v14
	ds_store_2addr_b64 v9, v[10:11], v[14:15] offset0:128 offset1:136
	s_wait_loadcnt_dscnt 0x0
	s_barrier_signal -1
	s_barrier_wait -1
	global_inv scope:SCOPE_SE
	ds_load_2addr_b64 v[14:17], v7 offset0:128 offset1:132
	s_wait_dscnt 0x0
	v_cvt_u32_f64_e32 v10, v[14:15]
	v_cvt_u32_f64_e32 v11, v[16:17]
	s_delay_alu instid0(VALU_DEP_1) | instskip(SKIP_1) | instid1(VALU_DEP_1)
	v_max_u32_e32 v14, v10, v11
	v_min_u32_e32 v10, v10, v11
	v_cndmask_b32_e32 v11, v14, v10, vcc_lo
	v_cndmask_b32_e32 v14, v10, v14, vcc_lo
	s_delay_alu instid0(VALU_DEP_2) | instskip(NEXT) | instid1(VALU_DEP_2)
	v_cvt_f64_u32_e32 v[10:11], v11
	;; [unrolled: 17-line block ×3, first 2 shown]
	v_cvt_f64_u32_e32 v[14:15], v14
	ds_store_2addr_b64 v1, v[10:11], v[14:15] offset0:128 offset1:130
	s_wait_loadcnt_dscnt 0x0
	s_barrier_signal -1
	s_barrier_wait -1
	global_inv scope:SCOPE_SE
	ds_load_b128 v[14:17], v0 offset:27648
	s_wait_dscnt 0x0
	v_cvt_u32_f64_e32 v10, v[14:15]
	v_cvt_u32_f64_e32 v11, v[16:17]
	s_delay_alu instid0(VALU_DEP_1) | instskip(SKIP_1) | instid1(VALU_DEP_1)
	v_max_u32_e32 v14, v10, v11
	v_min_u32_e32 v10, v10, v11
	v_cndmask_b32_e32 v11, v14, v10, vcc_lo
	v_cndmask_b32_e32 v10, v10, v14, vcc_lo
	s_delay_alu instid0(VALU_DEP_2) | instskip(NEXT) | instid1(VALU_DEP_2)
	v_cvt_f64_u32_e32 v[14:15], v11
	v_cvt_f64_u32_e32 v[16:17], v10
	v_and_b32_e32 v10, 31, v6
	s_delay_alu instid0(VALU_DEP_1) | instskip(NEXT) | instid1(VALU_DEP_1)
	v_sub_nc_u32_e32 v10, v8, v10
	v_lshlrev_b32_e32 v10, 3, v10
	s_delay_alu instid0(VALU_DEP_1)
	v_add_nc_u32_e32 v18, 0x6800, v10
	ds_store_b128 v0, v[14:17] offset:27648
	s_wait_loadcnt_dscnt 0x0
	s_barrier_signal -1
	s_barrier_wait -1
	global_inv scope:SCOPE_SE
	ds_load_2addr_b64 v[14:17], v18 offset0:128 offset1:160
	s_wait_dscnt 0x0
	v_cvt_u32_f64_e32 v10, v[14:15]
	v_cvt_u32_f64_e32 v11, v[16:17]
	v_and_b32_e32 v14, 32, v6
	s_delay_alu instid0(VALU_DEP_1) | instskip(NEXT) | instid1(VALU_DEP_3)
	v_cmp_eq_u32_e32 vcc_lo, 0, v14
	v_max_u32_e32 v15, v10, v11
	v_min_u32_e32 v10, v10, v11
	s_wait_alu 0xfffd
	s_delay_alu instid0(VALU_DEP_1) | instskip(NEXT) | instid1(VALU_DEP_1)
	v_dual_cndmask_b32 v11, v15, v10 :: v_dual_cndmask_b32 v14, v10, v15
	v_cvt_f64_u32_e32 v[10:11], v11
	s_delay_alu instid0(VALU_DEP_2)
	v_cvt_f64_u32_e32 v[14:15], v14
	ds_store_2addr_b64 v18, v[10:11], v[14:15] offset0:128 offset1:160
	s_wait_loadcnt_dscnt 0x0
	s_barrier_signal -1
	s_barrier_wait -1
	global_inv scope:SCOPE_SE
	ds_load_2addr_b64 v[14:17], v12 offset0:128 offset1:144
	s_wait_dscnt 0x0
	v_cvt_u32_f64_e32 v10, v[14:15]
	v_cvt_u32_f64_e32 v11, v[16:17]
	s_delay_alu instid0(VALU_DEP_1) | instskip(SKIP_1) | instid1(VALU_DEP_1)
	v_max_u32_e32 v14, v10, v11
	v_min_u32_e32 v10, v10, v11
	v_cndmask_b32_e32 v11, v14, v10, vcc_lo
	v_cndmask_b32_e32 v14, v10, v14, vcc_lo
	s_delay_alu instid0(VALU_DEP_2) | instskip(NEXT) | instid1(VALU_DEP_2)
	v_cvt_f64_u32_e32 v[10:11], v11
	v_cvt_f64_u32_e32 v[14:15], v14
	ds_store_2addr_b64 v12, v[10:11], v[14:15] offset0:128 offset1:144
	s_wait_loadcnt_dscnt 0x0
	s_barrier_signal -1
	s_barrier_wait -1
	global_inv scope:SCOPE_SE
	ds_load_2addr_b64 v[14:17], v9 offset0:128 offset1:136
	s_wait_dscnt 0x0
	v_cvt_u32_f64_e32 v10, v[14:15]
	v_cvt_u32_f64_e32 v11, v[16:17]
	s_delay_alu instid0(VALU_DEP_1) | instskip(SKIP_1) | instid1(VALU_DEP_1)
	v_max_u32_e32 v14, v10, v11
	v_min_u32_e32 v10, v10, v11
	v_cndmask_b32_e32 v11, v14, v10, vcc_lo
	v_cndmask_b32_e32 v14, v10, v14, vcc_lo
	s_delay_alu instid0(VALU_DEP_2) | instskip(NEXT) | instid1(VALU_DEP_2)
	v_cvt_f64_u32_e32 v[10:11], v11
	;; [unrolled: 17-line block ×4, first 2 shown]
	v_cvt_f64_u32_e32 v[14:15], v14
	ds_store_2addr_b64 v1, v[10:11], v[14:15] offset0:128 offset1:130
	s_wait_loadcnt_dscnt 0x0
	s_barrier_signal -1
	s_barrier_wait -1
	global_inv scope:SCOPE_SE
	ds_load_b128 v[14:17], v0 offset:27648
	s_wait_dscnt 0x0
	v_cvt_u32_f64_e32 v10, v[14:15]
	v_cvt_u32_f64_e32 v11, v[16:17]
	s_delay_alu instid0(VALU_DEP_1) | instskip(SKIP_1) | instid1(VALU_DEP_1)
	v_max_u32_e32 v14, v10, v11
	v_min_u32_e32 v10, v10, v11
	v_cndmask_b32_e32 v11, v14, v10, vcc_lo
	v_cndmask_b32_e32 v10, v10, v14, vcc_lo
	s_delay_alu instid0(VALU_DEP_2) | instskip(NEXT) | instid1(VALU_DEP_2)
	v_cvt_f64_u32_e32 v[14:15], v11
	v_cvt_f64_u32_e32 v[16:17], v10
	v_and_b32_e32 v10, 63, v6
	s_delay_alu instid0(VALU_DEP_1) | instskip(NEXT) | instid1(VALU_DEP_1)
	v_sub_nc_u32_e32 v10, v8, v10
	v_lshlrev_b32_e32 v19, 3, v10
	ds_store_b128 v0, v[14:17] offset:27648
	s_wait_loadcnt_dscnt 0x0
	s_barrier_signal -1
	s_barrier_wait -1
	global_inv scope:SCOPE_SE
	ds_load_2addr_stride64_b64 v[14:17], v19 offset0:54 offset1:55
	s_wait_dscnt 0x0
	v_cvt_u32_f64_e32 v10, v[14:15]
	v_cvt_u32_f64_e32 v11, v[16:17]
	v_and_b32_e32 v14, 64, v6
	s_delay_alu instid0(VALU_DEP_1) | instskip(NEXT) | instid1(VALU_DEP_3)
	v_cmp_eq_u32_e32 vcc_lo, 0, v14
	v_max_u32_e32 v15, v10, v11
	v_min_u32_e32 v10, v10, v11
	s_wait_alu 0xfffd
	s_delay_alu instid0(VALU_DEP_1) | instskip(NEXT) | instid1(VALU_DEP_1)
	v_dual_cndmask_b32 v11, v15, v10 :: v_dual_cndmask_b32 v14, v10, v15
	v_cvt_f64_u32_e32 v[10:11], v11
	s_delay_alu instid0(VALU_DEP_2)
	v_cvt_f64_u32_e32 v[14:15], v14
	ds_store_2addr_stride64_b64 v19, v[10:11], v[14:15] offset0:54 offset1:55
	s_wait_loadcnt_dscnt 0x0
	s_barrier_signal -1
	s_barrier_wait -1
	global_inv scope:SCOPE_SE
	ds_load_2addr_b64 v[14:17], v18 offset0:128 offset1:160
	s_wait_dscnt 0x0
	v_cvt_u32_f64_e32 v10, v[14:15]
	v_cvt_u32_f64_e32 v11, v[16:17]
	s_delay_alu instid0(VALU_DEP_1) | instskip(SKIP_1) | instid1(VALU_DEP_1)
	v_max_u32_e32 v14, v10, v11
	v_min_u32_e32 v10, v10, v11
	v_cndmask_b32_e32 v11, v14, v10, vcc_lo
	v_cndmask_b32_e32 v14, v10, v14, vcc_lo
	s_delay_alu instid0(VALU_DEP_2) | instskip(NEXT) | instid1(VALU_DEP_2)
	v_cvt_f64_u32_e32 v[10:11], v11
	v_cvt_f64_u32_e32 v[14:15], v14
	ds_store_2addr_b64 v18, v[10:11], v[14:15] offset0:128 offset1:160
	s_wait_loadcnt_dscnt 0x0
	s_barrier_signal -1
	s_barrier_wait -1
	global_inv scope:SCOPE_SE
	ds_load_2addr_b64 v[14:17], v12 offset0:128 offset1:144
	s_wait_dscnt 0x0
	v_cvt_u32_f64_e32 v10, v[14:15]
	v_cvt_u32_f64_e32 v11, v[16:17]
	s_delay_alu instid0(VALU_DEP_1) | instskip(SKIP_1) | instid1(VALU_DEP_1)
	v_max_u32_e32 v14, v10, v11
	v_min_u32_e32 v10, v10, v11
	v_cndmask_b32_e32 v11, v14, v10, vcc_lo
	v_cndmask_b32_e32 v14, v10, v14, vcc_lo
	s_delay_alu instid0(VALU_DEP_2) | instskip(NEXT) | instid1(VALU_DEP_2)
	v_cvt_f64_u32_e32 v[10:11], v11
	v_cvt_f64_u32_e32 v[14:15], v14
	ds_store_2addr_b64 v12, v[10:11], v[14:15] offset0:128 offset1:144
	;; [unrolled: 17-line block ×5, first 2 shown]
	s_wait_loadcnt_dscnt 0x0
	s_barrier_signal -1
	s_barrier_wait -1
	global_inv scope:SCOPE_SE
	ds_load_b128 v[14:17], v0 offset:27648
	s_wait_dscnt 0x0
	v_cvt_u32_f64_e32 v10, v[14:15]
	v_cvt_u32_f64_e32 v11, v[16:17]
	s_delay_alu instid0(VALU_DEP_1) | instskip(SKIP_1) | instid1(VALU_DEP_1)
	v_max_u32_e32 v14, v10, v11
	v_min_u32_e32 v10, v10, v11
	v_cndmask_b32_e32 v11, v14, v10, vcc_lo
	v_cndmask_b32_e32 v10, v10, v14, vcc_lo
	s_delay_alu instid0(VALU_DEP_2) | instskip(NEXT) | instid1(VALU_DEP_2)
	v_cvt_f64_u32_e32 v[14:15], v11
	v_cvt_f64_u32_e32 v[16:17], v10
	v_and_b32_e32 v10, 0x7f, v6
	s_delay_alu instid0(VALU_DEP_1) | instskip(NEXT) | instid1(VALU_DEP_1)
	v_sub_nc_u32_e32 v8, v8, v10
	v_lshlrev_b32_e32 v8, 3, v8
	ds_store_b128 v0, v[14:17] offset:27648
	s_wait_loadcnt_dscnt 0x0
	s_barrier_signal -1
	s_barrier_wait -1
	global_inv scope:SCOPE_SE
	ds_load_2addr_stride64_b64 v[14:17], v8 offset0:54 offset1:56
	s_wait_dscnt 0x0
	v_cvt_u32_f64_e32 v10, v[14:15]
	v_cvt_u32_f64_e32 v11, v[16:17]
	s_delay_alu instid0(VALU_DEP_1) | instskip(SKIP_1) | instid1(VALU_DEP_2)
	v_min_u32_e32 v14, v10, v11
	v_max_u32_e32 v15, v10, v11
	v_cvt_f64_u32_e32 v[10:11], v14
	s_delay_alu instid0(VALU_DEP_2)
	v_cvt_f64_u32_e32 v[14:15], v15
	ds_store_2addr_stride64_b64 v8, v[10:11], v[14:15] offset0:54 offset1:56
	s_wait_loadcnt_dscnt 0x0
	s_barrier_signal -1
	s_barrier_wait -1
	global_inv scope:SCOPE_SE
	ds_load_2addr_stride64_b64 v[14:17], v19 offset0:54 offset1:55
	s_wait_dscnt 0x0
	v_cvt_u32_f64_e32 v8, v[14:15]
	v_cvt_u32_f64_e32 v10, v[16:17]
	s_delay_alu instid0(VALU_DEP_1) | instskip(SKIP_1) | instid1(VALU_DEP_2)
	v_min_u32_e32 v11, v8, v10
	v_max_u32_e32 v8, v8, v10
	v_cvt_f64_u32_e32 v[10:11], v11
	s_delay_alu instid0(VALU_DEP_2)
	v_cvt_f64_u32_e32 v[14:15], v8
	ds_store_2addr_stride64_b64 v19, v[10:11], v[14:15] offset0:54 offset1:55
	s_wait_loadcnt_dscnt 0x0
	s_barrier_signal -1
	s_barrier_wait -1
	global_inv scope:SCOPE_SE
	ds_load_2addr_b64 v[14:17], v18 offset0:128 offset1:160
	s_wait_dscnt 0x0
	v_cvt_u32_f64_e32 v8, v[14:15]
	v_cvt_u32_f64_e32 v10, v[16:17]
	s_delay_alu instid0(VALU_DEP_1) | instskip(SKIP_1) | instid1(VALU_DEP_2)
	v_min_u32_e32 v11, v8, v10
	v_max_u32_e32 v8, v8, v10
	v_cvt_f64_u32_e32 v[10:11], v11
	s_delay_alu instid0(VALU_DEP_2)
	v_cvt_f64_u32_e32 v[14:15], v8
	ds_store_2addr_b64 v18, v[10:11], v[14:15] offset0:128 offset1:160
	s_wait_loadcnt_dscnt 0x0
	s_barrier_signal -1
	s_barrier_wait -1
	global_inv scope:SCOPE_SE
	ds_load_2addr_b64 v[14:17], v12 offset0:128 offset1:144
	s_wait_dscnt 0x0
	v_cvt_u32_f64_e32 v8, v[14:15]
	v_cvt_u32_f64_e32 v10, v[16:17]
	s_delay_alu instid0(VALU_DEP_1) | instskip(SKIP_1) | instid1(VALU_DEP_2)
	v_min_u32_e32 v11, v8, v10
	v_max_u32_e32 v8, v8, v10
	v_cvt_f64_u32_e32 v[10:11], v11
	s_delay_alu instid0(VALU_DEP_2)
	v_cvt_f64_u32_e32 v[14:15], v8
	ds_store_2addr_b64 v12, v[10:11], v[14:15] offset0:128 offset1:144
	;; [unrolled: 15-line block ×5, first 2 shown]
	s_wait_loadcnt_dscnt 0x0
	s_barrier_signal -1
	s_barrier_wait -1
	global_inv scope:SCOPE_SE
	ds_load_b128 v[7:10], v0 offset:27648
	s_wait_dscnt 0x0
	v_cvt_u32_f64_e32 v1, v[7:8]
	v_cvt_u32_f64_e32 v7, v[9:10]
	s_delay_alu instid0(VALU_DEP_1) | instskip(SKIP_1) | instid1(VALU_DEP_2)
	v_min_u32_e32 v8, v1, v7
	v_max_u32_e32 v1, v1, v7
	v_cvt_f64_u32_e32 v[7:8], v8
	s_delay_alu instid0(VALU_DEP_2)
	v_cvt_f64_u32_e32 v[9:10], v1
	ds_store_b128 v0, v[7:10] offset:27648
	s_wait_loadcnt_dscnt 0x0
	s_barrier_signal -1
	s_barrier_wait -1
	global_inv scope:SCOPE_SE
	v_cmpx_lt_u32_e64 v6, v5
	s_cbranch_execz .LBB7_16
; %bb.14:
	v_mov_b32_e32 v1, 0
.LBB7_15:                               ; =>This Inner Loop Header: Depth=1
	ds_load_b64 v[7:8], v13
	v_add_nc_u32_e32 v0, v4, v6
	v_add_nc_u32_e32 v6, 0x80, v6
	;; [unrolled: 1-line block ×3, first 2 shown]
	s_delay_alu instid0(VALU_DEP_3) | instskip(NEXT) | instid1(VALU_DEP_3)
	v_lshlrev_b64_e32 v[9:10], 3, v[0:1]
	v_cmp_ge_u32_e32 vcc_lo, v6, v5
	s_wait_alu 0xfffe
	s_or_b32 s3, vcc_lo, s3
	s_delay_alu instid0(VALU_DEP_2)
	v_add_co_u32 v9, s0, v2, v9
	s_wait_alu 0xf1ff
	v_add_co_ci_u32_e64 v10, null, v3, v10, s0
	s_wait_dscnt 0x0
	flat_store_b64 v[9:10], v[7:8]
	s_wait_alu 0xfffe
	s_and_not1_b32 exec_lo, exec_lo, s3
	s_cbranch_execnz .LBB7_15
.LBB7_16:
	s_wait_alu 0xfffe
	s_or_b32 exec_lo, exec_lo, s4
.LBB7_17:
	s_wait_alu 0xfffe
	s_or_b32 exec_lo, exec_lo, s2
                                        ; implicit-def: $vgpr4
                                        ; implicit-def: $vgpr0
                                        ; implicit-def: $vgpr1
                                        ; implicit-def: $vgpr6
                                        ; implicit-def: $vgpr2
                                        ; implicit-def: $vgpr3
	s_and_not1_saveexec_b32 s1, s1
	s_cbranch_execz .LBB7_2
.LBB7_18:
	v_dual_mov_b32 v8, 0 :: v_dual_lshlrev_b32 v7, 1, v6
	s_mov_b32 s2, 0
	s_mov_b32 s3, exec_lo
	s_delay_alu instid0(VALU_DEP_1) | instskip(SKIP_3) | instid1(VALU_DEP_3)
	v_dual_mov_b32 v37, v8 :: v_dual_and_b32 v48, 0x7f, v6
	v_mov_b32_e32 v5, v8
	v_lshlrev_b64_e32 v[11:12], 3, v[7:8]
	v_and_b32_e32 v36, 63, v6
	v_lshlrev_b64_e32 v[9:10], 3, v[4:5]
	s_delay_alu instid0(VALU_DEP_2) | instskip(NEXT) | instid1(VALU_DEP_2)
	v_sub_nc_u32_e32 v36, v7, v36
	v_add_co_u32 v5, vcc_lo, v0, v9
	s_wait_alu 0xfffd
	s_delay_alu instid0(VALU_DEP_3) | instskip(NEXT) | instid1(VALU_DEP_3)
	v_add_co_ci_u32_e64 v27, null, v1, v10, vcc_lo
	v_lshlrev_b64_e32 v[38:39], 3, v[36:37]
	s_delay_alu instid0(VALU_DEP_3) | instskip(SKIP_1) | instid1(VALU_DEP_3)
	v_add_co_u32 v9, vcc_lo, v5, v11
	s_wait_alu 0xfffd
	v_add_co_ci_u32_e64 v10, null, v27, v12, vcc_lo
	v_ashrrev_i32_e32 v37, 31, v36
	flat_load_b128 v[11:14], v[9:10]
	v_lshlrev_b64_e32 v[36:37], 3, v[36:37]
	s_wait_loadcnt_dscnt 0x0
	v_cvt_u32_f64_e32 v11, v[11:12]
	v_cvt_u32_f64_e32 v12, v[13:14]
	v_and_b32_e32 v13, 1, v6
	s_delay_alu instid0(VALU_DEP_1) | instskip(NEXT) | instid1(VALU_DEP_3)
	v_cmp_eq_u32_e32 vcc_lo, 0, v13
	v_max_u32_e32 v14, v11, v12
	v_min_u32_e32 v11, v11, v12
	s_wait_alu 0xfffd
	s_delay_alu instid0(VALU_DEP_1) | instskip(NEXT) | instid1(VALU_DEP_1)
	v_dual_cndmask_b32 v12, v14, v11 :: v_dual_cndmask_b32 v11, v11, v14
	v_cvt_f64_u32_e32 v[15:16], v12
	s_delay_alu instid0(VALU_DEP_2) | instskip(SKIP_2) | instid1(VALU_DEP_1)
	v_cvt_f64_u32_e32 v[17:18], v11
	v_mov_b32_e32 v12, v8
	v_sub_nc_u32_e32 v11, v7, v13
	v_lshlrev_b64_e32 v[13:14], 3, v[11:12]
	v_ashrrev_i32_e32 v12, 31, v11
	s_delay_alu instid0(VALU_DEP_1) | instskip(NEXT) | instid1(VALU_DEP_3)
	v_lshlrev_b64_e32 v[19:20], 3, v[11:12]
	v_add_co_u32 v11, vcc_lo, v5, v13
	s_wait_alu 0xfffd
	s_delay_alu instid0(VALU_DEP_4) | instskip(NEXT) | instid1(VALU_DEP_3)
	v_add_co_ci_u32_e64 v12, null, v27, v14, vcc_lo
	v_add_co_u32 v13, vcc_lo, v5, v19
	s_wait_alu 0xfffd
	v_add_co_ci_u32_e64 v14, null, v27, v20, vcc_lo
	flat_store_b128 v[9:10], v[15:18]
	s_wait_storecnt_dscnt 0x0
	s_barrier_signal -1
	s_barrier_wait -1
	global_inv scope:SCOPE_SE
	s_clause 0x1
	flat_load_b64 v[15:16], v[11:12]
	flat_load_b64 v[17:18], v[13:14] offset:16
	s_wait_loadcnt_dscnt 0x101
	v_cvt_u32_f64_e32 v15, v[15:16]
	s_wait_loadcnt_dscnt 0x0
	v_cvt_u32_f64_e32 v16, v[17:18]
	v_and_b32_e32 v17, 2, v6
	s_delay_alu instid0(VALU_DEP_1) | instskip(NEXT) | instid1(VALU_DEP_3)
	v_cmp_eq_u32_e32 vcc_lo, 0, v17
	v_max_u32_e32 v18, v15, v16
	v_min_u32_e32 v15, v15, v16
	s_wait_alu 0xfffd
	s_delay_alu instid0(VALU_DEP_1) | instskip(NEXT) | instid1(VALU_DEP_1)
	v_dual_cndmask_b32 v16, v18, v15 :: v_dual_cndmask_b32 v17, v15, v18
	v_cvt_f64_u32_e32 v[15:16], v16
	s_delay_alu instid0(VALU_DEP_2)
	v_cvt_f64_u32_e32 v[17:18], v17
	s_clause 0x1
	flat_store_b64 v[11:12], v[15:16]
	flat_store_b64 v[13:14], v[17:18] offset:16
	s_wait_storecnt_dscnt 0x0
	s_barrier_signal -1
	s_barrier_wait -1
	global_inv scope:SCOPE_SE
	flat_load_b128 v[15:18], v[9:10]
	s_wait_loadcnt_dscnt 0x0
	v_cvt_u32_f64_e32 v15, v[15:16]
	v_cvt_u32_f64_e32 v16, v[17:18]
	s_delay_alu instid0(VALU_DEP_1) | instskip(SKIP_1) | instid1(VALU_DEP_1)
	v_max_u32_e32 v17, v15, v16
	v_min_u32_e32 v15, v15, v16
	v_dual_cndmask_b32 v16, v17, v15 :: v_dual_cndmask_b32 v15, v15, v17
	s_delay_alu instid0(VALU_DEP_1) | instskip(NEXT) | instid1(VALU_DEP_2)
	v_cvt_f64_u32_e32 v[19:20], v16
	v_cvt_f64_u32_e32 v[21:22], v15
	v_dual_mov_b32 v16, v8 :: v_dual_and_b32 v15, 3, v6
	s_delay_alu instid0(VALU_DEP_1) | instskip(NEXT) | instid1(VALU_DEP_1)
	v_sub_nc_u32_e32 v15, v7, v15
	v_lshlrev_b64_e32 v[17:18], 3, v[15:16]
	v_ashrrev_i32_e32 v16, 31, v15
	s_delay_alu instid0(VALU_DEP_1) | instskip(NEXT) | instid1(VALU_DEP_3)
	v_lshlrev_b64_e32 v[23:24], 3, v[15:16]
	v_add_co_u32 v15, vcc_lo, v5, v17
	s_wait_alu 0xfffd
	s_delay_alu instid0(VALU_DEP_4) | instskip(NEXT) | instid1(VALU_DEP_3)
	v_add_co_ci_u32_e64 v16, null, v27, v18, vcc_lo
	v_add_co_u32 v17, vcc_lo, v5, v23
	s_wait_alu 0xfffd
	v_add_co_ci_u32_e64 v18, null, v27, v24, vcc_lo
	flat_store_b128 v[9:10], v[19:22]
	s_wait_storecnt_dscnt 0x0
	s_barrier_signal -1
	s_barrier_wait -1
	global_inv scope:SCOPE_SE
	s_clause 0x1
	flat_load_b64 v[19:20], v[15:16]
	flat_load_b64 v[21:22], v[17:18] offset:32
	s_wait_loadcnt_dscnt 0x101
	v_cvt_u32_f64_e32 v19, v[19:20]
	s_wait_loadcnt_dscnt 0x0
	v_cvt_u32_f64_e32 v20, v[21:22]
	v_and_b32_e32 v21, 4, v6
	s_delay_alu instid0(VALU_DEP_1) | instskip(NEXT) | instid1(VALU_DEP_3)
	v_cmp_eq_u32_e32 vcc_lo, 0, v21
	v_max_u32_e32 v22, v19, v20
	v_min_u32_e32 v19, v19, v20
	s_wait_alu 0xfffd
	s_delay_alu instid0(VALU_DEP_1) | instskip(NEXT) | instid1(VALU_DEP_1)
	v_dual_cndmask_b32 v20, v22, v19 :: v_dual_cndmask_b32 v21, v19, v22
	v_cvt_f64_u32_e32 v[19:20], v20
	s_delay_alu instid0(VALU_DEP_2)
	v_cvt_f64_u32_e32 v[21:22], v21
	s_clause 0x1
	flat_store_b64 v[15:16], v[19:20]
	flat_store_b64 v[17:18], v[21:22] offset:32
	s_wait_storecnt_dscnt 0x0
	s_barrier_signal -1
	s_barrier_wait -1
	global_inv scope:SCOPE_SE
	s_clause 0x1
	flat_load_b64 v[19:20], v[11:12]
	flat_load_b64 v[21:22], v[13:14] offset:16
	s_wait_loadcnt_dscnt 0x101
	v_cvt_u32_f64_e32 v19, v[19:20]
	s_wait_loadcnt_dscnt 0x0
	v_cvt_u32_f64_e32 v20, v[21:22]
	s_delay_alu instid0(VALU_DEP_1) | instskip(SKIP_1) | instid1(VALU_DEP_1)
	v_max_u32_e32 v21, v19, v20
	v_min_u32_e32 v19, v19, v20
	v_dual_cndmask_b32 v20, v21, v19 :: v_dual_cndmask_b32 v21, v19, v21
	s_delay_alu instid0(VALU_DEP_1) | instskip(NEXT) | instid1(VALU_DEP_2)
	v_cvt_f64_u32_e32 v[19:20], v20
	v_cvt_f64_u32_e32 v[21:22], v21
	s_clause 0x1
	flat_store_b64 v[11:12], v[19:20]
	flat_store_b64 v[13:14], v[21:22] offset:16
	s_wait_storecnt_dscnt 0x0
	s_barrier_signal -1
	s_barrier_wait -1
	global_inv scope:SCOPE_SE
	flat_load_b128 v[19:22], v[9:10]
	s_wait_loadcnt_dscnt 0x0
	v_cvt_u32_f64_e32 v19, v[19:20]
	v_cvt_u32_f64_e32 v20, v[21:22]
	s_delay_alu instid0(VALU_DEP_1) | instskip(SKIP_1) | instid1(VALU_DEP_1)
	v_max_u32_e32 v21, v19, v20
	v_min_u32_e32 v19, v19, v20
	v_dual_cndmask_b32 v20, v21, v19 :: v_dual_cndmask_b32 v19, v19, v21
	s_delay_alu instid0(VALU_DEP_1) | instskip(NEXT) | instid1(VALU_DEP_2)
	v_cvt_f64_u32_e32 v[23:24], v20
	v_cvt_f64_u32_e32 v[25:26], v19
	v_dual_mov_b32 v20, v8 :: v_dual_and_b32 v19, 7, v6
	s_delay_alu instid0(VALU_DEP_1) | instskip(NEXT) | instid1(VALU_DEP_1)
	v_sub_nc_u32_e32 v19, v7, v19
	v_lshlrev_b64_e32 v[21:22], 3, v[19:20]
	v_ashrrev_i32_e32 v20, 31, v19
	s_delay_alu instid0(VALU_DEP_1) | instskip(NEXT) | instid1(VALU_DEP_3)
	v_lshlrev_b64_e32 v[28:29], 3, v[19:20]
	v_add_co_u32 v19, vcc_lo, v5, v21
	s_wait_alu 0xfffd
	s_delay_alu instid0(VALU_DEP_4) | instskip(NEXT) | instid1(VALU_DEP_3)
	v_add_co_ci_u32_e64 v20, null, v27, v22, vcc_lo
	v_add_co_u32 v21, vcc_lo, v5, v28
	s_wait_alu 0xfffd
	v_add_co_ci_u32_e64 v22, null, v27, v29, vcc_lo
	flat_store_b128 v[9:10], v[23:26]
	s_wait_storecnt_dscnt 0x0
	s_barrier_signal -1
	s_barrier_wait -1
	global_inv scope:SCOPE_SE
	s_clause 0x1
	flat_load_b64 v[23:24], v[19:20]
	flat_load_b64 v[25:26], v[21:22] offset:64
	s_wait_loadcnt_dscnt 0x101
	v_cvt_u32_f64_e32 v23, v[23:24]
	s_wait_loadcnt_dscnt 0x0
	v_cvt_u32_f64_e32 v24, v[25:26]
	v_and_b32_e32 v25, 8, v6
	s_delay_alu instid0(VALU_DEP_1) | instskip(NEXT) | instid1(VALU_DEP_3)
	v_cmp_eq_u32_e32 vcc_lo, 0, v25
	v_max_u32_e32 v26, v23, v24
	v_min_u32_e32 v23, v23, v24
	s_wait_alu 0xfffd
	s_delay_alu instid0(VALU_DEP_1) | instskip(NEXT) | instid1(VALU_DEP_1)
	v_dual_cndmask_b32 v24, v26, v23 :: v_dual_cndmask_b32 v25, v23, v26
	v_cvt_f64_u32_e32 v[23:24], v24
	s_delay_alu instid0(VALU_DEP_2)
	v_cvt_f64_u32_e32 v[25:26], v25
	s_clause 0x1
	flat_store_b64 v[19:20], v[23:24]
	flat_store_b64 v[21:22], v[25:26] offset:64
	s_wait_storecnt_dscnt 0x0
	s_barrier_signal -1
	s_barrier_wait -1
	global_inv scope:SCOPE_SE
	s_clause 0x1
	flat_load_b64 v[23:24], v[15:16]
	flat_load_b64 v[25:26], v[17:18] offset:32
	s_wait_loadcnt_dscnt 0x101
	v_cvt_u32_f64_e32 v23, v[23:24]
	s_wait_loadcnt_dscnt 0x0
	v_cvt_u32_f64_e32 v24, v[25:26]
	s_delay_alu instid0(VALU_DEP_1) | instskip(SKIP_1) | instid1(VALU_DEP_1)
	v_max_u32_e32 v25, v23, v24
	v_min_u32_e32 v23, v23, v24
	v_dual_cndmask_b32 v24, v25, v23 :: v_dual_cndmask_b32 v25, v23, v25
	s_delay_alu instid0(VALU_DEP_1) | instskip(NEXT) | instid1(VALU_DEP_2)
	v_cvt_f64_u32_e32 v[23:24], v24
	v_cvt_f64_u32_e32 v[25:26], v25
	s_clause 0x1
	flat_store_b64 v[15:16], v[23:24]
	flat_store_b64 v[17:18], v[25:26] offset:32
	s_wait_storecnt_dscnt 0x0
	s_barrier_signal -1
	s_barrier_wait -1
	global_inv scope:SCOPE_SE
	s_clause 0x1
	flat_load_b64 v[23:24], v[11:12]
	flat_load_b64 v[25:26], v[13:14] offset:16
	s_wait_loadcnt_dscnt 0x101
	v_cvt_u32_f64_e32 v23, v[23:24]
	s_wait_loadcnt_dscnt 0x0
	v_cvt_u32_f64_e32 v24, v[25:26]
	s_delay_alu instid0(VALU_DEP_1) | instskip(SKIP_1) | instid1(VALU_DEP_1)
	v_max_u32_e32 v25, v23, v24
	v_min_u32_e32 v23, v23, v24
	v_dual_cndmask_b32 v24, v25, v23 :: v_dual_cndmask_b32 v25, v23, v25
	s_delay_alu instid0(VALU_DEP_1) | instskip(NEXT) | instid1(VALU_DEP_2)
	v_cvt_f64_u32_e32 v[23:24], v24
	v_cvt_f64_u32_e32 v[25:26], v25
	s_clause 0x1
	flat_store_b64 v[11:12], v[23:24]
	flat_store_b64 v[13:14], v[25:26] offset:16
	s_wait_storecnt_dscnt 0x0
	s_barrier_signal -1
	s_barrier_wait -1
	global_inv scope:SCOPE_SE
	flat_load_b128 v[23:26], v[9:10]
	s_wait_loadcnt_dscnt 0x0
	v_cvt_u32_f64_e32 v23, v[23:24]
	v_cvt_u32_f64_e32 v24, v[25:26]
	s_delay_alu instid0(VALU_DEP_1) | instskip(SKIP_1) | instid1(VALU_DEP_1)
	v_max_u32_e32 v25, v23, v24
	v_min_u32_e32 v23, v23, v24
	v_dual_cndmask_b32 v24, v25, v23 :: v_dual_cndmask_b32 v23, v23, v25
	s_delay_alu instid0(VALU_DEP_1) | instskip(NEXT) | instid1(VALU_DEP_2)
	v_cvt_f64_u32_e32 v[28:29], v24
	v_cvt_f64_u32_e32 v[30:31], v23
	v_dual_mov_b32 v24, v8 :: v_dual_and_b32 v23, 15, v6
	s_delay_alu instid0(VALU_DEP_1) | instskip(NEXT) | instid1(VALU_DEP_1)
	v_sub_nc_u32_e32 v23, v7, v23
	v_lshlrev_b64_e32 v[25:26], 3, v[23:24]
	v_ashrrev_i32_e32 v24, 31, v23
	s_delay_alu instid0(VALU_DEP_1) | instskip(NEXT) | instid1(VALU_DEP_3)
	v_lshlrev_b64_e32 v[32:33], 3, v[23:24]
	v_add_co_u32 v23, vcc_lo, v5, v25
	s_wait_alu 0xfffd
	s_delay_alu instid0(VALU_DEP_4) | instskip(NEXT) | instid1(VALU_DEP_3)
	v_add_co_ci_u32_e64 v24, null, v27, v26, vcc_lo
	v_add_co_u32 v25, vcc_lo, v5, v32
	s_wait_alu 0xfffd
	v_add_co_ci_u32_e64 v26, null, v27, v33, vcc_lo
	v_dual_mov_b32 v33, v8 :: v_dual_and_b32 v32, 31, v6
	s_delay_alu instid0(VALU_DEP_1)
	v_sub_nc_u32_e32 v32, v7, v32
	v_sub_nc_u32_e32 v7, v7, v48
	flat_store_b128 v[9:10], v[28:31]
	s_wait_storecnt_dscnt 0x0
	s_barrier_signal -1
	s_barrier_wait -1
	global_inv scope:SCOPE_SE
	s_clause 0x1
	flat_load_b64 v[28:29], v[23:24]
	flat_load_b64 v[30:31], v[25:26] offset:128
	v_lshlrev_b64_e32 v[34:35], 3, v[32:33]
	v_ashrrev_i32_e32 v33, 31, v32
	v_ashrrev_i32_e32 v49, 31, v7
	v_mov_b32_e32 v48, v7
	v_lshlrev_b64_e32 v[50:51], 3, v[7:8]
	s_delay_alu instid0(VALU_DEP_4) | instskip(NEXT) | instid1(VALU_DEP_3)
	v_lshlrev_b64_e32 v[32:33], 3, v[32:33]
	v_lshlrev_b64_e32 v[48:49], 3, v[48:49]
	s_wait_loadcnt_dscnt 0x101
	v_cvt_u32_f64_e32 v28, v[28:29]
	s_wait_loadcnt_dscnt 0x0
	v_cvt_u32_f64_e32 v29, v[30:31]
	v_and_b32_e32 v30, 16, v6
	s_delay_alu instid0(VALU_DEP_1) | instskip(NEXT) | instid1(VALU_DEP_3)
	v_cmp_eq_u32_e32 vcc_lo, 0, v30
	v_max_u32_e32 v31, v28, v29
	v_min_u32_e32 v28, v28, v29
	s_wait_alu 0xfffd
	s_delay_alu instid0(VALU_DEP_1) | instskip(NEXT) | instid1(VALU_DEP_1)
	v_dual_cndmask_b32 v29, v31, v28 :: v_dual_cndmask_b32 v30, v28, v31
	v_cvt_f64_u32_e32 v[28:29], v29
	s_delay_alu instid0(VALU_DEP_2)
	v_cvt_f64_u32_e32 v[30:31], v30
	s_clause 0x1
	flat_store_b64 v[23:24], v[28:29]
	flat_store_b64 v[25:26], v[30:31] offset:128
	s_wait_storecnt_dscnt 0x0
	s_barrier_signal -1
	s_barrier_wait -1
	global_inv scope:SCOPE_SE
	s_clause 0x1
	flat_load_b64 v[28:29], v[19:20]
	flat_load_b64 v[30:31], v[21:22] offset:64
	s_wait_loadcnt_dscnt 0x101
	v_cvt_u32_f64_e32 v28, v[28:29]
	s_wait_loadcnt_dscnt 0x0
	v_cvt_u32_f64_e32 v29, v[30:31]
	s_delay_alu instid0(VALU_DEP_1) | instskip(SKIP_1) | instid1(VALU_DEP_1)
	v_max_u32_e32 v30, v28, v29
	v_min_u32_e32 v28, v28, v29
	v_dual_cndmask_b32 v29, v30, v28 :: v_dual_cndmask_b32 v30, v28, v30
	s_delay_alu instid0(VALU_DEP_1) | instskip(NEXT) | instid1(VALU_DEP_2)
	v_cvt_f64_u32_e32 v[28:29], v29
	v_cvt_f64_u32_e32 v[30:31], v30
	s_clause 0x1
	flat_store_b64 v[19:20], v[28:29]
	flat_store_b64 v[21:22], v[30:31] offset:64
	s_wait_storecnt_dscnt 0x0
	s_barrier_signal -1
	s_barrier_wait -1
	global_inv scope:SCOPE_SE
	s_clause 0x1
	flat_load_b64 v[28:29], v[15:16]
	flat_load_b64 v[30:31], v[17:18] offset:32
	s_wait_loadcnt_dscnt 0x101
	v_cvt_u32_f64_e32 v28, v[28:29]
	s_wait_loadcnt_dscnt 0x0
	v_cvt_u32_f64_e32 v29, v[30:31]
	s_delay_alu instid0(VALU_DEP_1) | instskip(SKIP_1) | instid1(VALU_DEP_1)
	v_max_u32_e32 v30, v28, v29
	v_min_u32_e32 v28, v28, v29
	v_dual_cndmask_b32 v29, v30, v28 :: v_dual_cndmask_b32 v30, v28, v30
	s_delay_alu instid0(VALU_DEP_1) | instskip(NEXT) | instid1(VALU_DEP_2)
	v_cvt_f64_u32_e32 v[28:29], v29
	;; [unrolled: 21-line block ×3, first 2 shown]
	v_cvt_f64_u32_e32 v[30:31], v30
	s_clause 0x1
	flat_store_b64 v[11:12], v[28:29]
	flat_store_b64 v[13:14], v[30:31] offset:16
	s_wait_storecnt_dscnt 0x0
	s_barrier_signal -1
	s_barrier_wait -1
	global_inv scope:SCOPE_SE
	flat_load_b128 v[28:31], v[9:10]
	s_wait_loadcnt_dscnt 0x0
	v_cvt_u32_f64_e32 v28, v[28:29]
	v_cvt_u32_f64_e32 v29, v[30:31]
	s_delay_alu instid0(VALU_DEP_1) | instskip(SKIP_1) | instid1(VALU_DEP_1)
	v_max_u32_e32 v30, v28, v29
	v_min_u32_e32 v28, v28, v29
	v_dual_cndmask_b32 v29, v30, v28 :: v_dual_cndmask_b32 v30, v28, v30
	v_add_co_u32 v34, vcc_lo, v5, v34
	s_wait_alu 0xfffd
	v_add_co_ci_u32_e64 v35, null, v27, v35, vcc_lo
	s_delay_alu instid0(VALU_DEP_3)
	v_cvt_f64_u32_e32 v[28:29], v29
	v_cvt_f64_u32_e32 v[30:31], v30
	v_add_co_u32 v32, vcc_lo, v5, v32
	s_wait_alu 0xfffd
	v_add_co_ci_u32_e64 v33, null, v27, v33, vcc_lo
	flat_store_b128 v[9:10], v[28:31]
	s_wait_storecnt_dscnt 0x0
	s_barrier_signal -1
	s_barrier_wait -1
	global_inv scope:SCOPE_SE
	s_clause 0x1
	flat_load_b64 v[28:29], v[34:35]
	flat_load_b64 v[30:31], v[32:33] offset:256
	s_wait_loadcnt_dscnt 0x101
	v_cvt_u32_f64_e32 v28, v[28:29]
	s_wait_loadcnt_dscnt 0x0
	v_cvt_u32_f64_e32 v29, v[30:31]
	v_and_b32_e32 v30, 32, v6
	s_delay_alu instid0(VALU_DEP_1) | instskip(NEXT) | instid1(VALU_DEP_3)
	v_cmp_eq_u32_e32 vcc_lo, 0, v30
	v_max_u32_e32 v31, v28, v29
	v_min_u32_e32 v28, v28, v29
	s_wait_alu 0xfffd
	s_delay_alu instid0(VALU_DEP_1) | instskip(NEXT) | instid1(VALU_DEP_1)
	v_dual_cndmask_b32 v29, v31, v28 :: v_dual_cndmask_b32 v30, v28, v31
	v_cvt_f64_u32_e32 v[28:29], v29
	s_delay_alu instid0(VALU_DEP_2)
	v_cvt_f64_u32_e32 v[30:31], v30
	s_clause 0x1
	flat_store_b64 v[34:35], v[28:29]
	flat_store_b64 v[32:33], v[30:31] offset:256
	s_wait_storecnt_dscnt 0x0
	s_barrier_signal -1
	s_barrier_wait -1
	global_inv scope:SCOPE_SE
	s_clause 0x1
	flat_load_b64 v[28:29], v[23:24]
	flat_load_b64 v[30:31], v[25:26] offset:128
	s_wait_loadcnt_dscnt 0x101
	v_cvt_u32_f64_e32 v28, v[28:29]
	s_wait_loadcnt_dscnt 0x0
	v_cvt_u32_f64_e32 v29, v[30:31]
	s_delay_alu instid0(VALU_DEP_1) | instskip(SKIP_1) | instid1(VALU_DEP_1)
	v_max_u32_e32 v30, v28, v29
	v_min_u32_e32 v28, v28, v29
	v_dual_cndmask_b32 v29, v30, v28 :: v_dual_cndmask_b32 v30, v28, v30
	s_delay_alu instid0(VALU_DEP_1) | instskip(NEXT) | instid1(VALU_DEP_2)
	v_cvt_f64_u32_e32 v[28:29], v29
	v_cvt_f64_u32_e32 v[30:31], v30
	s_clause 0x1
	flat_store_b64 v[23:24], v[28:29]
	flat_store_b64 v[25:26], v[30:31] offset:128
	s_wait_storecnt_dscnt 0x0
	s_barrier_signal -1
	s_barrier_wait -1
	global_inv scope:SCOPE_SE
	s_clause 0x1
	flat_load_b64 v[28:29], v[19:20]
	flat_load_b64 v[30:31], v[21:22] offset:64
	s_wait_loadcnt_dscnt 0x101
	v_cvt_u32_f64_e32 v28, v[28:29]
	s_wait_loadcnt_dscnt 0x0
	v_cvt_u32_f64_e32 v29, v[30:31]
	s_delay_alu instid0(VALU_DEP_1) | instskip(SKIP_1) | instid1(VALU_DEP_1)
	v_max_u32_e32 v30, v28, v29
	v_min_u32_e32 v28, v28, v29
	v_dual_cndmask_b32 v29, v30, v28 :: v_dual_cndmask_b32 v30, v28, v30
	s_delay_alu instid0(VALU_DEP_1) | instskip(NEXT) | instid1(VALU_DEP_2)
	v_cvt_f64_u32_e32 v[28:29], v29
	;; [unrolled: 21-line block ×4, first 2 shown]
	v_cvt_f64_u32_e32 v[30:31], v30
	s_clause 0x1
	flat_store_b64 v[11:12], v[28:29]
	flat_store_b64 v[13:14], v[30:31] offset:16
	s_wait_storecnt_dscnt 0x0
	s_barrier_signal -1
	s_barrier_wait -1
	global_inv scope:SCOPE_SE
	flat_load_b128 v[28:31], v[9:10]
	s_wait_loadcnt_dscnt 0x0
	v_cvt_u32_f64_e32 v28, v[28:29]
	v_cvt_u32_f64_e32 v29, v[30:31]
	s_delay_alu instid0(VALU_DEP_1) | instskip(SKIP_1) | instid1(VALU_DEP_1)
	v_max_u32_e32 v30, v28, v29
	v_min_u32_e32 v28, v28, v29
	v_dual_cndmask_b32 v29, v30, v28 :: v_dual_cndmask_b32 v30, v28, v30
	v_add_co_u32 v38, vcc_lo, v5, v38
	s_wait_alu 0xfffd
	v_add_co_ci_u32_e64 v39, null, v27, v39, vcc_lo
	s_delay_alu instid0(VALU_DEP_3)
	v_cvt_f64_u32_e32 v[28:29], v29
	v_cvt_f64_u32_e32 v[30:31], v30
	v_add_co_u32 v36, vcc_lo, v5, v36
	s_wait_alu 0xfffd
	v_add_co_ci_u32_e64 v37, null, v27, v37, vcc_lo
	flat_store_b128 v[9:10], v[28:31]
	s_wait_storecnt_dscnt 0x0
	s_barrier_signal -1
	s_barrier_wait -1
	global_inv scope:SCOPE_SE
	s_clause 0x1
	flat_load_b64 v[28:29], v[38:39]
	flat_load_b64 v[30:31], v[36:37] offset:512
	s_wait_loadcnt_dscnt 0x101
	v_cvt_u32_f64_e32 v28, v[28:29]
	s_wait_loadcnt_dscnt 0x0
	v_cvt_u32_f64_e32 v29, v[30:31]
	v_and_b32_e32 v30, 64, v6
	s_delay_alu instid0(VALU_DEP_1) | instskip(NEXT) | instid1(VALU_DEP_3)
	v_cmp_eq_u32_e32 vcc_lo, 0, v30
	v_max_u32_e32 v31, v28, v29
	v_min_u32_e32 v28, v28, v29
	s_wait_alu 0xfffd
	s_delay_alu instid0(VALU_DEP_1) | instskip(NEXT) | instid1(VALU_DEP_1)
	v_dual_cndmask_b32 v29, v31, v28 :: v_dual_cndmask_b32 v30, v28, v31
	v_cvt_f64_u32_e32 v[28:29], v29
	s_delay_alu instid0(VALU_DEP_2)
	v_cvt_f64_u32_e32 v[30:31], v30
	s_clause 0x1
	flat_store_b64 v[38:39], v[28:29]
	flat_store_b64 v[36:37], v[30:31] offset:512
	s_wait_storecnt_dscnt 0x0
	s_barrier_signal -1
	s_barrier_wait -1
	global_inv scope:SCOPE_SE
	s_clause 0x1
	flat_load_b64 v[28:29], v[34:35]
	flat_load_b64 v[30:31], v[32:33] offset:256
	s_wait_loadcnt_dscnt 0x101
	v_cvt_u32_f64_e32 v28, v[28:29]
	s_wait_loadcnt_dscnt 0x0
	v_cvt_u32_f64_e32 v29, v[30:31]
	s_delay_alu instid0(VALU_DEP_1) | instskip(SKIP_1) | instid1(VALU_DEP_1)
	v_max_u32_e32 v30, v28, v29
	v_min_u32_e32 v28, v28, v29
	v_dual_cndmask_b32 v29, v30, v28 :: v_dual_cndmask_b32 v30, v28, v30
	s_delay_alu instid0(VALU_DEP_1) | instskip(NEXT) | instid1(VALU_DEP_2)
	v_cvt_f64_u32_e32 v[28:29], v29
	v_cvt_f64_u32_e32 v[30:31], v30
	s_clause 0x1
	flat_store_b64 v[34:35], v[28:29]
	flat_store_b64 v[32:33], v[30:31] offset:256
	s_wait_storecnt_dscnt 0x0
	s_barrier_signal -1
	s_barrier_wait -1
	global_inv scope:SCOPE_SE
	s_clause 0x1
	flat_load_b64 v[28:29], v[23:24]
	flat_load_b64 v[30:31], v[25:26] offset:128
	s_wait_loadcnt_dscnt 0x101
	v_cvt_u32_f64_e32 v28, v[28:29]
	s_wait_loadcnt_dscnt 0x0
	v_cvt_u32_f64_e32 v29, v[30:31]
	s_delay_alu instid0(VALU_DEP_1) | instskip(SKIP_1) | instid1(VALU_DEP_1)
	v_max_u32_e32 v30, v28, v29
	v_min_u32_e32 v28, v28, v29
	v_dual_cndmask_b32 v29, v30, v28 :: v_dual_cndmask_b32 v30, v28, v30
	s_delay_alu instid0(VALU_DEP_1) | instskip(NEXT) | instid1(VALU_DEP_2)
	v_cvt_f64_u32_e32 v[28:29], v29
	;; [unrolled: 21-line block ×5, first 2 shown]
	v_cvt_f64_u32_e32 v[30:31], v30
	s_clause 0x1
	flat_store_b64 v[11:12], v[28:29]
	flat_store_b64 v[13:14], v[30:31] offset:16
	s_wait_storecnt_dscnt 0x0
	s_barrier_signal -1
	s_barrier_wait -1
	global_inv scope:SCOPE_SE
	flat_load_b128 v[28:31], v[9:10]
	s_wait_loadcnt_dscnt 0x0
	v_cvt_u32_f64_e32 v28, v[28:29]
	v_cvt_u32_f64_e32 v29, v[30:31]
	s_delay_alu instid0(VALU_DEP_1) | instskip(SKIP_1) | instid1(VALU_DEP_1)
	v_max_u32_e32 v30, v28, v29
	v_min_u32_e32 v28, v28, v29
	v_dual_cndmask_b32 v29, v30, v28 :: v_dual_cndmask_b32 v30, v28, v30
	v_add_co_u32 v50, vcc_lo, v5, v50
	s_wait_alu 0xfffd
	v_add_co_ci_u32_e64 v51, null, v27, v51, vcc_lo
	s_delay_alu instid0(VALU_DEP_3)
	v_cvt_f64_u32_e32 v[28:29], v29
	v_cvt_f64_u32_e32 v[30:31], v30
	v_add_co_u32 v48, vcc_lo, v5, v48
	s_wait_alu 0xfffd
	v_add_co_ci_u32_e64 v49, null, v27, v49, vcc_lo
	flat_store_b128 v[9:10], v[28:31]
	s_wait_storecnt_dscnt 0x0
	s_barrier_signal -1
	s_barrier_wait -1
	global_inv scope:SCOPE_SE
	s_clause 0x1
	flat_load_b64 v[27:28], v[50:51]
	flat_load_b64 v[29:30], v[48:49] offset:1024
	s_wait_loadcnt_dscnt 0x101
	v_cvt_u32_f64_e32 v5, v[27:28]
	s_wait_loadcnt_dscnt 0x0
	v_cvt_u32_f64_e32 v7, v[29:30]
	s_delay_alu instid0(VALU_DEP_1) | instskip(SKIP_1) | instid1(VALU_DEP_2)
	v_min_u32_e32 v27, v5, v7
	v_max_u32_e32 v5, v5, v7
	v_cvt_f64_u32_e32 v[27:28], v27
	s_delay_alu instid0(VALU_DEP_2)
	v_cvt_f64_u32_e32 v[29:30], v5
	s_clause 0x1
	flat_store_b64 v[50:51], v[27:28]
	flat_store_b64 v[48:49], v[29:30] offset:1024
	s_wait_storecnt_dscnt 0x0
	s_barrier_signal -1
	s_barrier_wait -1
	global_inv scope:SCOPE_SE
	s_clause 0x1
	flat_load_b64 v[27:28], v[38:39]
	flat_load_b64 v[29:30], v[36:37] offset:512
	s_wait_loadcnt_dscnt 0x101
	v_cvt_u32_f64_e32 v5, v[27:28]
	s_wait_loadcnt_dscnt 0x0
	v_cvt_u32_f64_e32 v7, v[29:30]
	s_delay_alu instid0(VALU_DEP_1) | instskip(SKIP_1) | instid1(VALU_DEP_2)
	v_min_u32_e32 v27, v5, v7
	v_max_u32_e32 v5, v5, v7
	v_cvt_f64_u32_e32 v[27:28], v27
	s_delay_alu instid0(VALU_DEP_2)
	v_cvt_f64_u32_e32 v[29:30], v5
	s_clause 0x1
	flat_store_b64 v[38:39], v[27:28]
	flat_store_b64 v[36:37], v[29:30] offset:512
	;; [unrolled: 20-line block ×7, first 2 shown]
	s_wait_storecnt_dscnt 0x0
	s_barrier_signal -1
	s_barrier_wait -1
	global_inv scope:SCOPE_SE
	flat_load_b128 v[11:14], v[9:10]
	s_wait_loadcnt_dscnt 0x0
	v_cvt_u32_f64_e32 v5, v[11:12]
	v_cvt_u32_f64_e32 v7, v[13:14]
	s_delay_alu instid0(VALU_DEP_1) | instskip(SKIP_1) | instid1(VALU_DEP_2)
	v_min_u32_e32 v11, v5, v7
	v_max_u32_e32 v5, v5, v7
	v_cvt_f64_u32_e32 v[11:12], v11
	s_delay_alu instid0(VALU_DEP_2)
	v_cvt_f64_u32_e32 v[13:14], v5
	flat_store_b128 v[9:10], v[11:14]
	s_wait_storecnt_dscnt 0x0
	s_barrier_signal -1
	s_barrier_wait -1
	global_inv scope:SCOPE_SE
	v_cmpx_gt_u32_e32 0x100, v6
	s_cbranch_execz .LBB7_20
.LBB7_19:                               ; =>This Inner Loop Header: Depth=1
	v_add_nc_u32_e32 v5, 0x80, v6
	v_add_nc_u32_e32 v7, v4, v6
	s_delay_alu instid0(VALU_DEP_1) | instskip(NEXT) | instid1(VALU_DEP_1)
	v_lshlrev_b64_e32 v[9:10], 3, v[7:8]
	v_add_co_u32 v11, vcc_lo, v0, v9
	s_wait_alu 0xfffd
	s_delay_alu instid0(VALU_DEP_2)
	v_add_co_ci_u32_e64 v12, null, v1, v10, vcc_lo
	v_cmp_lt_u32_e32 vcc_lo, 0x7f, v6
	v_add_co_u32 v9, s0, v2, v9
	flat_load_b64 v[11:12], v[11:12]
	s_wait_alu 0xf1ff
	v_add_co_ci_u32_e64 v10, null, v3, v10, s0
	v_mov_b32_e32 v6, v5
	s_wait_alu 0xfffe
	s_or_b32 s2, vcc_lo, s2
	s_wait_loadcnt_dscnt 0x0
	flat_store_b64 v[9:10], v[11:12]
	s_wait_alu 0xfffe
	s_and_not1_b32 exec_lo, exec_lo, s2
	s_cbranch_execnz .LBB7_19
.LBB7_20:
	s_wait_alu 0xfffe
	s_or_b32 exec_lo, exec_lo, s3
	s_delay_alu instid0(SALU_CYCLE_1)
	s_or_b32 exec_lo, exec_lo, s1
	s_wait_loadcnt_dscnt 0x0
	s_setpc_b64 s[30:31]
.Lfunc_end7:
	.size	_Z14sort_thresholdIdEvPT_S1_jjS1_j, .Lfunc_end7-_Z14sort_thresholdIdEvPT_S1_jjS1_j
                                        ; -- End function
	.set .L_Z14sort_thresholdIdEvPT_S1_jjS1_j.num_vgpr, 52
	.set .L_Z14sort_thresholdIdEvPT_S1_jjS1_j.num_agpr, 0
	.set .L_Z14sort_thresholdIdEvPT_S1_jjS1_j.numbered_sgpr, 32
	.set .L_Z14sort_thresholdIdEvPT_S1_jjS1_j.num_named_barrier, 0
	.set .L_Z14sort_thresholdIdEvPT_S1_jjS1_j.private_seg_size, 0
	.set .L_Z14sort_thresholdIdEvPT_S1_jjS1_j.uses_vcc, 1
	.set .L_Z14sort_thresholdIdEvPT_S1_jjS1_j.uses_flat_scratch, 1
	.set .L_Z14sort_thresholdIdEvPT_S1_jjS1_j.has_dyn_sized_stack, 0
	.set .L_Z14sort_thresholdIdEvPT_S1_jjS1_j.has_recursion, 0
	.set .L_Z14sort_thresholdIdEvPT_S1_jjS1_j.has_indirect_call, 0
	.section	.AMDGPU.csdata,"",@progbits
; Function info:
; codeLenInByte = 8984
; TotalNumSgprs: 34
; NumVgprs: 52
; ScratchSize: 0
; MemoryBound: 0
	.section	.text._Z13lqsort_kernelIdEvPT_S1_P11work_recordIS0_E,"axG",@progbits,_Z13lqsort_kernelIdEvPT_S1_P11work_recordIS0_E,comdat
	.protected	_Z13lqsort_kernelIdEvPT_S1_P11work_recordIS0_E ; -- Begin function _Z13lqsort_kernelIdEvPT_S1_P11work_recordIS0_E
	.globl	_Z13lqsort_kernelIdEvPT_S1_P11work_recordIS0_E
	.p2align	8
	.type	_Z13lqsort_kernelIdEvPT_S1_P11work_recordIS0_E,@function
_Z13lqsort_kernelIdEvPT_S1_P11work_recordIS0_E: ; @_Z13lqsort_kernelIdEvPT_S1_P11work_recordIS0_E
; %bb.0:
	s_clause 0x1
	s_load_b64 s[4:5], s[0:1], 0x10
	s_load_b128 s[16:19], s[0:1], 0x0
	s_mov_b32 s2, ttmp9
	s_mov_b32 s3, 0
	v_mov_b32_e32 v42, v0
	v_mov_b32_e32 v0, 0
	s_mul_u64 s[2:3], s[2:3], 24
	s_mov_b32 s32, 0
	s_wait_kmcnt 0x0
	s_add_nc_u64 s[2:3], s[4:5], s[2:3]
	v_cmp_eq_u32_e64 s5, 0, v42
	s_clause 0x1
	global_load_b64 v[45:46], v0, s[2:3]
	global_load_b32 v3, v0, s[2:3] offset:16
	s_wait_loadcnt 0x1
	v_sub_nc_u32_e32 v1, v46, v45
	s_and_saveexec_b32 s2, s5
	s_cbranch_execz .LBB8_2
; %bb.1:
	v_mov_b32_e32 v2, 1
	ds_store_b32 v0, v0 offset:30212
	ds_store_b96 v0, v[0:2] offset:30752
.LBB8_2:
	s_or_b32 exec_lo, exec_lo, s2
	s_wait_loadcnt 0x0
	v_cmp_eq_u32_e32 vcc_lo, 1, v3
	v_cmp_lt_u32_e64 s2, v42, v1
	s_mov_b32 s3, -1
	s_cbranch_vccnz .LBB8_7
; %bb.3:
	s_and_saveexec_b32 s3, s2
	s_cbranch_execz .LBB8_6
; %bb.4:
	v_dual_mov_b32 v3, 0 :: v_dual_lshlrev_b32 v0, 3, v42
	v_mov_b32_e32 v4, v42
	s_mov_b32 s4, 0
.LBB8_5:                                ; =>This Inner Loop Header: Depth=1
	s_delay_alu instid0(VALU_DEP_1) | instskip(SKIP_1) | instid1(VALU_DEP_2)
	v_add_nc_u32_e32 v2, v45, v4
	v_add_nc_u32_e32 v4, 0x80, v4
	v_lshlrev_b64_e32 v[5:6], 3, v[2:3]
	s_delay_alu instid0(VALU_DEP_1) | instskip(SKIP_1) | instid1(VALU_DEP_2)
	v_add_co_u32 v5, vcc_lo, s18, v5
	s_wait_alu 0xfffd
	v_add_co_ci_u32_e64 v6, null, s19, v6, vcc_lo
	v_cmp_ge_u32_e32 vcc_lo, v4, v1
	global_load_b64 v[5:6], v[5:6], off
	s_or_b32 s4, vcc_lo, s4
	s_wait_loadcnt 0x0
	ds_store_b64 v0, v[5:6]
	v_add_nc_u32_e32 v0, 0x400, v0
	s_and_not1_b32 exec_lo, exec_lo, s4
	s_cbranch_execnz .LBB8_5
.LBB8_6:
	s_or_b32 exec_lo, exec_lo, s3
	s_mov_b32 s3, 0
.LBB8_7:
	s_delay_alu instid0(SALU_CYCLE_1)
	s_and_not1_b32 vcc_lo, exec_lo, s3
	s_wait_alu 0xfffe
	s_cbranch_vccnz .LBB8_12
; %bb.8:
	s_and_saveexec_b32 s3, s2
	s_cbranch_execz .LBB8_11
; %bb.9:
	v_dual_mov_b32 v3, 0 :: v_dual_lshlrev_b32 v0, 3, v42
	v_mov_b32_e32 v4, v42
	s_mov_b32 s2, 0
.LBB8_10:                               ; =>This Inner Loop Header: Depth=1
	s_delay_alu instid0(VALU_DEP_1) | instskip(SKIP_1) | instid1(VALU_DEP_2)
	v_add_nc_u32_e32 v2, v45, v4
	v_add_nc_u32_e32 v4, 0x80, v4
	v_lshlrev_b64_e32 v[5:6], 3, v[2:3]
	s_delay_alu instid0(VALU_DEP_1) | instskip(SKIP_1) | instid1(VALU_DEP_2)
	v_add_co_u32 v5, vcc_lo, s16, v5
	s_wait_alu 0xfffd
	v_add_co_ci_u32_e64 v6, null, s17, v6, vcc_lo
	v_cmp_ge_u32_e32 vcc_lo, v4, v1
	global_load_b64 v[5:6], v[5:6], off
	s_or_b32 s2, vcc_lo, s2
	s_wait_loadcnt 0x0
	ds_store_b64 v0, v[5:6]
	v_add_nc_u32_e32 v0, 0x400, v0
	s_and_not1_b32 exec_lo, exec_lo, s2
	s_cbranch_execnz .LBB8_10
.LBB8_11:
	s_or_b32 exec_lo, exec_lo, s3
.LBB8_12:
	v_mov_b32_e32 v47, 0
	s_wait_dscnt 0x0
	s_barrier_signal -1
	s_barrier_wait -1
	global_inv scope:SCOPE_SE
	ds_load_b32 v0, v47 offset:30212
	s_wait_dscnt 0x0
	v_cmp_gt_i32_e32 vcc_lo, 0, v0
	s_cbranch_vccnz .LBB8_75
; %bb.13:
	v_dual_mov_b32 v46, v47 :: v_dual_lshlrev_b32 v3, 2, v42
	v_and_b32_e32 v4, 1, v42
	v_and_b32_e32 v5, 3, v42
	s_mov_b64 s[14:15], src_shared_base
	s_delay_alu instid0(VALU_DEP_3)
	v_lshlrev_b64_e32 v[1:2], 3, v[45:46]
	v_add_nc_u32_e32 v52, 0x7400, v3
	v_add_nc_u32_e32 v53, 0x7610, v3
	v_cmp_eq_u32_e64 s6, 1, v4
	v_add_nc_u32_e32 v54, 0x760c, v3
	v_add_nc_u32_e32 v55, 0x73fc, v3
	v_add_co_u32 v43, vcc_lo, s16, v1
	v_and_b32_e32 v1, 7, v42
	s_wait_alu 0xfffd
	v_add_co_ci_u32_e64 v44, null, s17, v2, vcc_lo
	v_and_b32_e32 v2, 15, v42
	v_cmp_eq_u32_e64 s7, 3, v5
	v_cmp_eq_u32_e64 s10, 7, v1
	v_and_b32_e32 v1, 31, v42
	v_add_nc_u32_e32 v56, 0x7608, v3
	v_cmp_eq_u32_e64 s11, 15, v2
	v_and_b32_e32 v2, 63, v42
	v_add_nc_u32_e32 v57, 0x73f8, v3
	;; [unrolled: 3-line block ×3, first 2 shown]
	v_add_nc_u32_e32 v59, 0x73f0, v3
	v_add_nc_u32_e32 v60, 0x75f0, v3
	;; [unrolled: 1-line block ×5, first 2 shown]
	v_cmp_eq_u32_e64 s13, 63, v2
	v_add_nc_u32_e32 v64, 0x7590, v3
	v_add_nc_u32_e32 v65, 0x7380, v3
	v_cmp_eq_u32_e64 s14, 0x7f, v1
	v_add_nc_u32_e32 v66, 0x7510, v3
	v_add_nc_u32_e32 v67, 0x7300, v3
	v_add_nc_u32_e64 v68, 0x7600, 0
	v_add_nc_u32_e64 v69, 0x7400, 0
	;; [unrolled: 1-line block ×3, first 2 shown]
	s_add_nc_u64 s[8:9], s[0:1], 24
	s_branch .LBB8_15
.LBB8_14:                               ;   in Loop: Header=BB8_15 Depth=1
	ds_load_b32 v0, v47 offset:30212
	s_wait_dscnt 0x0
	v_cmp_lt_i32_e32 vcc_lo, -1, v0
	s_cbranch_vccz .LBB8_75
.LBB8_15:                               ; =>This Loop Header: Depth=1
                                        ;     Child Loop BB8_21 Depth 2
                                        ;     Child Loop BB8_56 Depth 2
	;; [unrolled: 1-line block ×3, first 2 shown]
	v_mul_lo_u32 v0, v0, 12
	s_delay_alu instid0(VALU_DEP_1)
	v_add_nc_u32_e32 v1, 0x7820, v0
	ds_load_2addr_b32 v[40:41], v1 offset1:1
	ds_load_b32 v71, v0 offset:30760
	s_wait_loadcnt_dscnt 0x0
	s_barrier_signal -1
	s_barrier_wait -1
	global_inv scope:SCOPE_SE
	s_and_saveexec_b32 s0, s5
	s_cbranch_execz .LBB8_17
; %bb.16:                               ;   in Loop: Header=BB8_15 Depth=1
	ds_load_b32 v0, v47 offset:30212
	s_wait_dscnt 0x0
	v_add_nc_u32_e32 v0, -1, v0
	ds_store_2addr_b32 v68, v0, v47 offset0:1 offset1:133
	ds_store_b32 v47, v47 offset:30824
.LBB8_17:                               ;   in Loop: Header=BB8_15 Depth=1
	s_wait_alu 0xfffe
	s_or_b32 exec_lo, exec_lo, s0
	v_cmp_eq_u32_e32 vcc_lo, 1, v71
	v_dual_mov_b32 v1, s15 :: v_dual_mov_b32 v46, v40
	v_mov_b32_e32 v3, s15
	s_wait_alu 0xfffd
	v_cndmask_b32_e64 v0, 0x3600, 0, vcc_lo
	v_cndmask_b32_e64 v2, 0, 0x3600, vcc_lo
	ds_store_b32 v52, v47
	ds_store_b32 v53, v47
	ds_store_2addr_b64 v69, v[0:1], v[2:3] offset0:65 offset1:131
	s_wait_loadcnt_dscnt 0x0
	s_barrier_signal -1
	s_barrier_wait -1
	global_inv scope:SCOPE_SE
	ds_load_b64 v[0:1], v47 offset:30216
	v_lshlrev_b64_e32 v[2:3], 3, v[46:47]
	s_wait_dscnt 0x0
	s_delay_alu instid0(VALU_DEP_1) | instskip(SKIP_1) | instid1(VALU_DEP_2)
	v_add_co_u32 v2, vcc_lo, v0, v2
	s_wait_alu 0xfffd
	v_add_co_ci_u32_e64 v3, null, v1, v3, vcc_lo
	v_cmp_ge_u32_e32 vcc_lo, v40, v41
	flat_load_b64 v[2:3], v[2:3]
	s_wait_loadcnt_dscnt 0x0
	v_cvt_u32_f64_e32 v10, v[2:3]
	s_cbranch_vccnz .LBB8_19
; %bb.18:                               ;   in Loop: Header=BB8_15 Depth=1
	v_add_nc_u32_e32 v2, v41, v40
	s_delay_alu instid0(VALU_DEP_1) | instskip(NEXT) | instid1(VALU_DEP_1)
	v_lshrrev_b32_e32 v46, 1, v2
	v_lshlrev_b64_e32 v[2:3], 3, v[46:47]
	v_add_nc_u32_e32 v46, -1, v41
	s_delay_alu instid0(VALU_DEP_1) | instskip(NEXT) | instid1(VALU_DEP_3)
	v_lshlrev_b64_e32 v[4:5], 3, v[46:47]
	v_add_co_u32 v2, vcc_lo, v0, v2
	s_wait_alu 0xfffd
	s_delay_alu instid0(VALU_DEP_4) | instskip(NEXT) | instid1(VALU_DEP_3)
	v_add_co_ci_u32_e64 v3, null, v1, v3, vcc_lo
	v_add_co_u32 v4, vcc_lo, v0, v4
	s_wait_alu 0xfffd
	v_add_co_ci_u32_e64 v5, null, v1, v5, vcc_lo
	s_clause 0x1
	flat_load_b64 v[2:3], v[2:3]
	flat_load_b64 v[4:5], v[4:5]
	s_wait_loadcnt_dscnt 0x101
	v_cvt_u32_f64_e32 v2, v[2:3]
	s_wait_loadcnt_dscnt 0x0
	v_cvt_u32_f64_e32 v3, v[4:5]
	s_delay_alu instid0(VALU_DEP_2) | instskip(NEXT) | instid1(VALU_DEP_2)
	v_max_u32_e32 v4, v10, v2
	v_minmax_u32 v2, v10, v2, v3
	s_delay_alu instid0(VALU_DEP_2) | instskip(SKIP_1) | instid1(VALU_DEP_2)
	v_cmp_lt_u32_e32 vcc_lo, v4, v3
	s_wait_alu 0xfffd
	v_cndmask_b32_e32 v10, v2, v4, vcc_lo
.LBB8_19:                               ;   in Loop: Header=BB8_15 Depth=1
	v_dual_mov_b32 v2, 0 :: v_dual_add_nc_u32 v11, v40, v42
	v_mov_b32_e32 v3, 0
	s_delay_alu instid0(VALU_DEP_2)
	v_cmp_lt_u32_e32 vcc_lo, v11, v41
	s_and_saveexec_b32 s2, vcc_lo
	s_cbranch_execz .LBB8_23
; %bb.20:                               ;   in Loop: Header=BB8_15 Depth=1
	v_dual_mov_b32 v2, 0 :: v_dual_mov_b32 v3, 0
	v_mov_b32_e32 v46, v11
	s_mov_b32 s3, 0
.LBB8_21:                               ;   Parent Loop BB8_15 Depth=1
                                        ; =>  This Inner Loop Header: Depth=2
	s_delay_alu instid0(VALU_DEP_1) | instskip(SKIP_1) | instid1(VALU_DEP_2)
	v_lshlrev_b64_e32 v[4:5], 3, v[46:47]
	v_add_nc_u32_e32 v46, 0x80, v46
	v_add_co_u32 v4, s0, v0, v4
	s_wait_alu 0xf1ff
	s_delay_alu instid0(VALU_DEP_3) | instskip(NEXT) | instid1(VALU_DEP_3)
	v_add_co_ci_u32_e64 v5, null, v1, v5, s0
	v_cmp_ge_u32_e64 s0, v46, v41
	flat_load_b64 v[4:5], v[4:5]
	s_wait_alu 0xfffe
	s_or_b32 s3, s0, s3
	s_wait_loadcnt_dscnt 0x0
	v_cvt_u32_f64_e32 v4, v[4:5]
	s_delay_alu instid0(VALU_DEP_1) | instskip(SKIP_1) | instid1(VALU_DEP_1)
	v_cmp_gt_u32_e64 s1, v10, v4
	s_wait_alu 0xf1ff
	v_add_co_ci_u32_e64 v2, null, 0, v2, s1
	v_cmp_lt_u32_e64 s1, v10, v4
	s_wait_alu 0xf1ff
	s_delay_alu instid0(VALU_DEP_1)
	v_add_co_ci_u32_e64 v3, null, 0, v3, s1
	s_wait_alu 0xfffe
	s_and_not1_b32 exec_lo, exec_lo, s3
	s_cbranch_execnz .LBB8_21
; %bb.22:                               ;   in Loop: Header=BB8_15 Depth=1
	s_or_b32 exec_lo, exec_lo, s3
.LBB8_23:                               ;   in Loop: Header=BB8_15 Depth=1
	s_wait_alu 0xfffe
	s_or_b32 exec_lo, exec_lo, s2
	ds_store_b32 v53, v2
	ds_store_b32 v52, v3
	s_wait_dscnt 0x0
	s_barrier_signal -1
	s_barrier_wait -1
	global_inv scope:SCOPE_SE
	s_and_saveexec_b32 s0, s6
	s_cbranch_execz .LBB8_25
; %bb.24:                               ;   in Loop: Header=BB8_15 Depth=1
	ds_load_2addr_b32 v[0:1], v54 offset1:1
	ds_load_2addr_b32 v[2:3], v55 offset1:1
	s_wait_dscnt 0x1
	v_add_nc_u32_e32 v0, v1, v0
	s_wait_dscnt 0x0
	v_add_nc_u32_e32 v1, v3, v2
	ds_store_b32 v53, v0
	ds_store_b32 v52, v1
.LBB8_25:                               ;   in Loop: Header=BB8_15 Depth=1
	s_wait_alu 0xfffe
	s_or_b32 exec_lo, exec_lo, s0
	s_wait_loadcnt_dscnt 0x0
	s_barrier_signal -1
	s_barrier_wait -1
	global_inv scope:SCOPE_SE
	s_and_saveexec_b32 s0, s7
	s_cbranch_execz .LBB8_27
; %bb.26:                               ;   in Loop: Header=BB8_15 Depth=1
	ds_load_b32 v0, v56
	ds_load_b32 v1, v57
	ds_load_b32 v2, v53
	ds_load_b32 v3, v52
	s_wait_dscnt 0x1
	v_add_nc_u32_e32 v0, v2, v0
	s_wait_dscnt 0x0
	v_add_nc_u32_e32 v1, v3, v1
	ds_store_b32 v53, v0
	ds_store_b32 v52, v1
.LBB8_27:                               ;   in Loop: Header=BB8_15 Depth=1
	s_wait_alu 0xfffe
	s_or_b32 exec_lo, exec_lo, s0
	s_wait_loadcnt_dscnt 0x0
	s_barrier_signal -1
	s_barrier_wait -1
	global_inv scope:SCOPE_SE
	s_and_saveexec_b32 s0, s10
	s_cbranch_execz .LBB8_29
; %bb.28:                               ;   in Loop: Header=BB8_15 Depth=1
	ds_load_b32 v0, v58
	ds_load_b32 v1, v59
	ds_load_b32 v2, v53
	ds_load_b32 v3, v52
	s_wait_dscnt 0x1
	v_add_nc_u32_e32 v0, v2, v0
	s_wait_dscnt 0x0
	v_add_nc_u32_e32 v1, v3, v1
	ds_store_b32 v53, v0
	ds_store_b32 v52, v1
.LBB8_29:                               ;   in Loop: Header=BB8_15 Depth=1
	;; [unrolled: 20-line block ×6, first 2 shown]
	s_wait_alu 0xfffe
	s_or_b32 exec_lo, exec_lo, s0
	s_wait_loadcnt_dscnt 0x0
	s_barrier_signal -1
	s_barrier_wait -1
	global_inv scope:SCOPE_SE
	s_and_saveexec_b32 s0, s14
	s_cbranch_execz .LBB8_39
; %bb.38:                               ;   in Loop: Header=BB8_15 Depth=1
	ds_load_b32 v0, v53
	ds_load_b32 v1, v52
	s_wait_dscnt 0x0
	ds_store_b64 v47, v[0:1] offset:30736
	ds_store_b32 v47, v1 offset:30208
	ds_store_b32 v47, v0 offset:30824
	ds_store_b32 v53, v47
	ds_store_b32 v52, v47
.LBB8_39:                               ;   in Loop: Header=BB8_15 Depth=1
	s_wait_alu 0xfffe
	s_or_b32 exec_lo, exec_lo, s0
	s_and_saveexec_b32 s0, s14
	s_cbranch_execz .LBB8_41
; %bb.40:                               ;   in Loop: Header=BB8_15 Depth=1
	ds_load_b32 v0, v66
	ds_load_b32 v1, v67
	ds_load_b32 v2, v53
	ds_load_b32 v3, v52
	s_wait_dscnt 0x1
	v_add_nc_u32_e32 v0, v2, v0
	s_wait_dscnt 0x0
	v_add_nc_u32_e32 v1, v3, v1
	ds_store_b32 v66, v2
	ds_store_b32 v67, v3
	ds_store_b32 v53, v0
	ds_store_b32 v52, v1
.LBB8_41:                               ;   in Loop: Header=BB8_15 Depth=1
	s_wait_alu 0xfffe
	s_or_b32 exec_lo, exec_lo, s0
	s_wait_loadcnt_dscnt 0x0
	s_barrier_signal -1
	s_barrier_wait -1
	global_inv scope:SCOPE_SE
	s_and_saveexec_b32 s0, s13
	s_cbranch_execz .LBB8_43
; %bb.42:                               ;   in Loop: Header=BB8_15 Depth=1
	ds_load_b32 v0, v64
	ds_load_b32 v1, v65
	ds_load_b32 v2, v53
	ds_load_b32 v3, v52
	s_wait_dscnt 0x1
	v_add_nc_u32_e32 v0, v2, v0
	s_wait_dscnt 0x0
	v_add_nc_u32_e32 v1, v3, v1
	ds_store_b32 v64, v2
	ds_store_b32 v65, v3
	ds_store_b32 v53, v0
	ds_store_b32 v52, v1
.LBB8_43:                               ;   in Loop: Header=BB8_15 Depth=1
	s_wait_alu 0xfffe
	s_or_b32 exec_lo, exec_lo, s0
	s_wait_loadcnt_dscnt 0x0
	s_barrier_signal -1
	s_barrier_wait -1
	global_inv scope:SCOPE_SE
	;; [unrolled: 22-line block ×6, first 2 shown]
	s_and_saveexec_b32 s0, s6
	s_cbranch_execz .LBB8_53
; %bb.52:                               ;   in Loop: Header=BB8_15 Depth=1
	ds_load_2addr_b32 v[0:1], v54 offset1:1
	ds_load_2addr_b32 v[2:3], v55 offset1:1
	s_wait_dscnt 0x1
	v_add_nc_u32_e32 v0, v1, v0
	s_wait_dscnt 0x0
	v_add_nc_u32_e32 v2, v3, v2
	ds_store_2addr_b32 v54, v1, v0 offset1:1
	ds_store_2addr_b32 v55, v3, v2 offset1:1
.LBB8_53:                               ;   in Loop: Header=BB8_15 Depth=1
	s_wait_alu 0xfffe
	s_or_b32 exec_lo, exec_lo, s0
	s_wait_loadcnt_dscnt 0x0
	s_barrier_signal -1
	s_barrier_wait -1
	global_inv scope:SCOPE_SE
	s_and_saveexec_b32 s0, vcc_lo
	s_cbranch_execz .LBB8_60
; %bb.54:                               ;   in Loop: Header=BB8_15 Depth=1
	ds_load_b32 v4, v52 offset:4
	ds_load_b32 v5, v53
	ds_load_2addr_b64 v[0:3], v69 offset0:65 offset1:131
	v_mov_b32_e32 v46, v11
	s_mov_b32 s1, 0
	s_wait_dscnt 0x2
	v_sub_nc_u32_e32 v4, v41, v4
	s_wait_dscnt 0x1
	v_add_nc_u32_e32 v6, v5, v40
	s_branch .LBB8_56
.LBB8_55:                               ;   in Loop: Header=BB8_56 Depth=2
	s_wait_alu 0xfffe
	s_or_b32 exec_lo, exec_lo, s2
	v_add_nc_u32_e32 v46, 0x80, v46
	s_delay_alu instid0(VALU_DEP_1)
	v_cmp_ge_u32_e32 vcc_lo, v46, v41
	s_or_b32 s1, vcc_lo, s1
	s_wait_alu 0xfffe
	s_and_not1_b32 exec_lo, exec_lo, s1
	s_cbranch_execz .LBB8_60
.LBB8_56:                               ;   Parent Loop BB8_15 Depth=1
                                        ; =>  This Inner Loop Header: Depth=2
	v_lshlrev_b64_e32 v[7:8], 3, v[46:47]
	s_mov_b32 s2, exec_lo
	s_wait_dscnt 0x0
	s_delay_alu instid0(VALU_DEP_1) | instskip(SKIP_1) | instid1(VALU_DEP_2)
	v_add_co_u32 v7, vcc_lo, v0, v7
	s_wait_alu 0xfffd
	v_add_co_ci_u32_e64 v8, null, v1, v8, vcc_lo
	flat_load_b64 v[7:8], v[7:8]
	s_wait_loadcnt_dscnt 0x0
	v_cvt_u32_f64_e32 v5, v[7:8]
	s_delay_alu instid0(VALU_DEP_1)
	v_cvt_f64_u32_e32 v[8:9], v5
	v_cmpx_gt_u32_e64 v10, v5
	s_cbranch_execz .LBB8_58
; %bb.57:                               ;   in Loop: Header=BB8_56 Depth=2
	v_mov_b32_e32 v7, v47
	s_delay_alu instid0(VALU_DEP_1) | instskip(SKIP_1) | instid1(VALU_DEP_2)
	v_lshlrev_b64_e32 v[12:13], 3, v[6:7]
	v_add_nc_u32_e32 v6, 1, v6
	v_add_co_u32 v12, vcc_lo, v2, v12
	s_wait_alu 0xfffd
	s_delay_alu instid0(VALU_DEP_3)
	v_add_co_ci_u32_e64 v13, null, v3, v13, vcc_lo
	flat_store_b64 v[12:13], v[8:9]
.LBB8_58:                               ;   in Loop: Header=BB8_56 Depth=2
	s_wait_alu 0xfffe
	s_or_b32 exec_lo, exec_lo, s2
	s_delay_alu instid0(SALU_CYCLE_1)
	s_mov_b32 s2, exec_lo
	v_cmpx_lt_u32_e64 v10, v5
	s_cbranch_execz .LBB8_55
; %bb.59:                               ;   in Loop: Header=BB8_56 Depth=2
	v_mov_b32_e32 v5, v47
	s_delay_alu instid0(VALU_DEP_1) | instskip(SKIP_1) | instid1(VALU_DEP_2)
	v_lshlrev_b64_e32 v[12:13], 3, v[4:5]
	v_add_nc_u32_e32 v4, 1, v4
	v_add_co_u32 v12, vcc_lo, v2, v12
	s_wait_alu 0xfffd
	s_delay_alu instid0(VALU_DEP_3)
	v_add_co_ci_u32_e64 v13, null, v3, v13, vcc_lo
	flat_store_b64 v[12:13], v[8:9]
	s_branch .LBB8_55
.LBB8_60:                               ;   in Loop: Header=BB8_15 Depth=1
	s_wait_alu 0xfffe
	s_or_b32 exec_lo, exec_lo, s0
	s_wait_storecnt 0x0
	s_wait_loadcnt_dscnt 0x0
	s_barrier_signal -1
	s_barrier_wait -1
	global_inv scope:SCOPE_SE
	ds_load_2addr_b32 v[0:1], v70 offset0:5 offset1:26
	s_mov_b32 s1, exec_lo
	s_wait_dscnt 0x0
	v_add_nc_u32_e32 v2, v11, v1
	v_sub_nc_u32_e32 v3, v41, v0
	s_delay_alu instid0(VALU_DEP_1)
	v_cmpx_lt_u32_e64 v2, v3
	s_cbranch_execz .LBB8_63
; %bb.61:                               ;   in Loop: Header=BB8_15 Depth=1
	v_cvt_f64_u32_e32 v[0:1], v10
	s_mov_b32 s2, 0
.LBB8_62:                               ;   Parent Loop BB8_15 Depth=1
                                        ; =>  This Inner Loop Header: Depth=2
	v_add_nc_u32_e32 v46, v45, v2
	v_add_nc_u32_e32 v2, 0x80, v2
	s_delay_alu instid0(VALU_DEP_2) | instskip(NEXT) | instid1(VALU_DEP_2)
	v_lshlrev_b64_e32 v[4:5], 3, v[46:47]
	v_cmp_ge_u32_e32 vcc_lo, v2, v3
	s_wait_alu 0xfffe
	s_or_b32 s2, vcc_lo, s2
	s_delay_alu instid0(VALU_DEP_2)
	v_add_co_u32 v4, s0, s16, v4
	s_wait_alu 0xf1ff
	v_add_co_ci_u32_e64 v5, null, s17, v5, s0
	global_store_b64 v[4:5], v[0:1], off
	s_wait_alu 0xfffe
	s_and_not1_b32 exec_lo, exec_lo, s2
	s_cbranch_execnz .LBB8_62
.LBB8_63:                               ;   in Loop: Header=BB8_15 Depth=1
	s_wait_alu 0xfffe
	s_or_b32 exec_lo, exec_lo, s1
	s_wait_loadcnt 0x0
	s_wait_storecnt 0x0
	s_barrier_signal -1
	s_barrier_wait -1
	global_inv scope:SCOPE_SE
	ds_load_b32 v2, v47 offset:30824
	s_mov_b32 s0, -1
	s_wait_dscnt 0x0
	v_cmp_lt_u32_e32 vcc_lo, 0x100, v2
	s_cbranch_vccz .LBB8_67
; %bb.64:                               ;   in Loop: Header=BB8_15 Depth=1
	s_and_saveexec_b32 s0, s5
	s_cbranch_execz .LBB8_66
; %bb.65:                               ;   in Loop: Header=BB8_15 Depth=1
	ds_load_b32 v0, v47 offset:30212
	v_add_nc_u32_e32 v3, v2, v40
	v_xor_b32_e32 v5, 1, v71
	s_wait_dscnt 0x0
	v_mul_lo_u32 v1, v0, 12
	v_add_nc_u32_e32 v0, 1, v0
	s_delay_alu instid0(VALU_DEP_2)
	v_add_nc_u32_e32 v4, 0x782c, v1
	ds_store_b32 v47, v0 offset:30212
	ds_store_2addr_b32 v4, v40, v3 offset1:1
	ds_store_b32 v1, v5 offset:30772
.LBB8_66:                               ;   in Loop: Header=BB8_15 Depth=1
	s_wait_alu 0xfffe
	s_or_b32 exec_lo, exec_lo, s0
	s_mov_b32 s0, 0
	s_wait_loadcnt_dscnt 0x0
	s_barrier_signal -1
	s_barrier_wait -1
	global_inv scope:SCOPE_SE
.LBB8_67:                               ;   in Loop: Header=BB8_15 Depth=1
	s_wait_alu 0xfffe
	s_and_b32 vcc_lo, exec_lo, s0
	s_wait_alu 0xfffe
	s_cbranch_vccz .LBB8_69
; %bb.68:                               ;   in Loop: Header=BB8_15 Depth=1
	ds_load_b64 v[0:1], v47 offset:30744
	v_dual_mov_b32 v2, v43 :: v_dual_add_nc_u32 v5, v2, v40
	v_dual_mov_b32 v3, v44 :: v_dual_mov_b32 v4, v40
	v_mov_b32_e32 v6, v42
	s_getpc_b64 s[0:1]
	s_wait_alu 0xfffe
	s_sext_i32_i16 s1, s1
	s_add_co_u32 s0, s0, _Z14sort_thresholdIdEvPT_S1_jjS1_j@rel32@lo+12
	s_wait_alu 0xfffe
	s_add_co_ci_u32 s1, s1, _Z14sort_thresholdIdEvPT_S1_jjS1_j@rel32@hi+24
	s_wait_alu 0xfffe
	s_swappc_b64 s[30:31], s[0:1]
.LBB8_69:                               ;   in Loop: Header=BB8_15 Depth=1
	ds_load_b32 v2, v47 offset:30740
	s_mov_b32 s0, -1
	s_wait_dscnt 0x0
	v_cmp_lt_u32_e32 vcc_lo, 0x100, v2
	s_cbranch_vccnz .LBB8_71
; %bb.70:                               ;   in Loop: Header=BB8_15 Depth=1
	s_wait_alu 0xfffe
	s_and_b32 vcc_lo, exec_lo, s0
	s_wait_alu 0xfffe
	s_cbranch_vccz .LBB8_14
	s_branch .LBB8_74
.LBB8_71:                               ;   in Loop: Header=BB8_15 Depth=1
	s_and_saveexec_b32 s0, s5
	s_cbranch_execz .LBB8_73
; %bb.72:                               ;   in Loop: Header=BB8_15 Depth=1
	ds_load_b32 v0, v47 offset:30212
	v_sub_nc_u32_e32 v3, v41, v2
	v_xor_b32_e32 v5, 1, v71
	s_wait_dscnt 0x0
	v_mul_lo_u32 v1, v0, 12
	v_add_nc_u32_e32 v0, 1, v0
	s_delay_alu instid0(VALU_DEP_2)
	v_add_nc_u32_e32 v4, 0x782c, v1
	ds_store_b32 v47, v0 offset:30212
	ds_store_2addr_b32 v4, v3, v41 offset1:1
	ds_store_b32 v1, v5 offset:30772
.LBB8_73:                               ;   in Loop: Header=BB8_15 Depth=1
	s_wait_alu 0xfffe
	s_or_b32 exec_lo, exec_lo, s0
	s_wait_storecnt 0x0
	s_wait_loadcnt_dscnt 0x0
	s_barrier_signal -1
	s_barrier_wait -1
	global_inv scope:SCOPE_SE
	s_branch .LBB8_14
.LBB8_74:                               ;   in Loop: Header=BB8_15 Depth=1
	ds_load_b64 v[0:1], v47 offset:30744
	v_sub_nc_u32_e32 v4, v41, v2
	v_dual_mov_b32 v2, v43 :: v_dual_mov_b32 v3, v44
	v_dual_mov_b32 v5, v41 :: v_dual_mov_b32 v6, v42
	s_getpc_b64 s[0:1]
	s_wait_alu 0xfffe
	s_sext_i32_i16 s1, s1
	s_add_co_u32 s0, s0, _Z14sort_thresholdIdEvPT_S1_jjS1_j@rel32@lo+12
	s_wait_alu 0xfffe
	s_add_co_ci_u32 s1, s1, _Z14sort_thresholdIdEvPT_S1_jjS1_j@rel32@hi+24
	s_wait_alu 0xfffe
	s_swappc_b64 s[30:31], s[0:1]
	s_branch .LBB8_14
.LBB8_75:
	s_endpgm
	.section	.rodata,"a",@progbits
	.p2align	6, 0x0
	.amdhsa_kernel _Z13lqsort_kernelIdEvPT_S1_P11work_recordIS0_E
		.amdhsa_group_segment_fixed_size 30832
		.amdhsa_private_segment_fixed_size 0
		.amdhsa_kernarg_size 280
		.amdhsa_user_sgpr_count 2
		.amdhsa_user_sgpr_dispatch_ptr 0
		.amdhsa_user_sgpr_queue_ptr 0
		.amdhsa_user_sgpr_kernarg_segment_ptr 1
		.amdhsa_user_sgpr_dispatch_id 0
		.amdhsa_user_sgpr_private_segment_size 0
		.amdhsa_wavefront_size32 1
		.amdhsa_uses_dynamic_stack 0
		.amdhsa_enable_private_segment 0
		.amdhsa_system_sgpr_workgroup_id_x 1
		.amdhsa_system_sgpr_workgroup_id_y 0
		.amdhsa_system_sgpr_workgroup_id_z 0
		.amdhsa_system_sgpr_workgroup_info 0
		.amdhsa_system_vgpr_workitem_id 0
		.amdhsa_next_free_vgpr 72
		.amdhsa_next_free_sgpr 33
		.amdhsa_reserve_vcc 1
		.amdhsa_float_round_mode_32 0
		.amdhsa_float_round_mode_16_64 0
		.amdhsa_float_denorm_mode_32 3
		.amdhsa_float_denorm_mode_16_64 3
		.amdhsa_fp16_overflow 0
		.amdhsa_workgroup_processor_mode 1
		.amdhsa_memory_ordered 1
		.amdhsa_forward_progress 1
		.amdhsa_inst_pref_size 32
		.amdhsa_round_robin_scheduling 0
		.amdhsa_exception_fp_ieee_invalid_op 0
		.amdhsa_exception_fp_denorm_src 0
		.amdhsa_exception_fp_ieee_div_zero 0
		.amdhsa_exception_fp_ieee_overflow 0
		.amdhsa_exception_fp_ieee_underflow 0
		.amdhsa_exception_fp_ieee_inexact 0
		.amdhsa_exception_int_div_zero 0
	.end_amdhsa_kernel
	.section	.text._Z13lqsort_kernelIdEvPT_S1_P11work_recordIS0_E,"axG",@progbits,_Z13lqsort_kernelIdEvPT_S1_P11work_recordIS0_E,comdat
.Lfunc_end8:
	.size	_Z13lqsort_kernelIdEvPT_S1_P11work_recordIS0_E, .Lfunc_end8-_Z13lqsort_kernelIdEvPT_S1_P11work_recordIS0_E
                                        ; -- End function
	.set _Z13lqsort_kernelIdEvPT_S1_P11work_recordIS0_E.num_vgpr, max(72, .L_Z14sort_thresholdIdEvPT_S1_jjS1_j.num_vgpr)
	.set _Z13lqsort_kernelIdEvPT_S1_P11work_recordIS0_E.num_agpr, max(0, .L_Z14sort_thresholdIdEvPT_S1_jjS1_j.num_agpr)
	.set _Z13lqsort_kernelIdEvPT_S1_P11work_recordIS0_E.numbered_sgpr, max(33, .L_Z14sort_thresholdIdEvPT_S1_jjS1_j.numbered_sgpr)
	.set _Z13lqsort_kernelIdEvPT_S1_P11work_recordIS0_E.num_named_barrier, max(0, .L_Z14sort_thresholdIdEvPT_S1_jjS1_j.num_named_barrier)
	.set _Z13lqsort_kernelIdEvPT_S1_P11work_recordIS0_E.private_seg_size, 0+max(.L_Z14sort_thresholdIdEvPT_S1_jjS1_j.private_seg_size)
	.set _Z13lqsort_kernelIdEvPT_S1_P11work_recordIS0_E.uses_vcc, or(1, .L_Z14sort_thresholdIdEvPT_S1_jjS1_j.uses_vcc)
	.set _Z13lqsort_kernelIdEvPT_S1_P11work_recordIS0_E.uses_flat_scratch, or(1, .L_Z14sort_thresholdIdEvPT_S1_jjS1_j.uses_flat_scratch)
	.set _Z13lqsort_kernelIdEvPT_S1_P11work_recordIS0_E.has_dyn_sized_stack, or(0, .L_Z14sort_thresholdIdEvPT_S1_jjS1_j.has_dyn_sized_stack)
	.set _Z13lqsort_kernelIdEvPT_S1_P11work_recordIS0_E.has_recursion, or(0, .L_Z14sort_thresholdIdEvPT_S1_jjS1_j.has_recursion)
	.set _Z13lqsort_kernelIdEvPT_S1_P11work_recordIS0_E.has_indirect_call, or(0, .L_Z14sort_thresholdIdEvPT_S1_jjS1_j.has_indirect_call)
	.section	.AMDGPU.csdata,"",@progbits
; Kernel info:
; codeLenInByte = 4004
; TotalNumSgprs: 35
; NumVgprs: 72
; ScratchSize: 0
; MemoryBound: 0
; FloatMode: 240
; IeeeMode: 1
; LDSByteSize: 30832 bytes/workgroup (compile time only)
; SGPRBlocks: 0
; VGPRBlocks: 8
; NumSGPRsForWavesPerEU: 35
; NumVGPRsForWavesPerEU: 72
; Occupancy: 16
; WaveLimiterHint : 1
; COMPUTE_PGM_RSRC2:SCRATCH_EN: 0
; COMPUTE_PGM_RSRC2:USER_SGPR: 2
; COMPUTE_PGM_RSRC2:TRAP_HANDLER: 0
; COMPUTE_PGM_RSRC2:TGID_X_EN: 1
; COMPUTE_PGM_RSRC2:TGID_Y_EN: 0
; COMPUTE_PGM_RSRC2:TGID_Z_EN: 0
; COMPUTE_PGM_RSRC2:TIDIG_COMP_CNT: 0
	.text
	.p2alignl 7, 3214868480
	.fill 96, 4, 3214868480
	.section	.AMDGPU.gpr_maximums,"",@progbits
	.set amdgpu.max_num_vgpr, 52
	.set amdgpu.max_num_agpr, 0
	.set amdgpu.max_num_sgpr, 32
	.text
	.type	__hip_cuid_926063b6ff2a372f,@object ; @__hip_cuid_926063b6ff2a372f
	.section	.bss,"aw",@nobits
	.globl	__hip_cuid_926063b6ff2a372f
__hip_cuid_926063b6ff2a372f:
	.byte	0                               ; 0x0
	.size	__hip_cuid_926063b6ff2a372f, 1

	.ident	"AMD clang version 22.0.0git (https://github.com/RadeonOpenCompute/llvm-project roc-7.2.4 26084 f58b06dce1f9c15707c5f808fd002e18c2accf7e)"
	.section	".note.GNU-stack","",@progbits
	.addrsig
	.addrsig_sym __hip_cuid_926063b6ff2a372f
	.amdgpu_metadata
---
amdhsa.kernels:
  - .args:
      - .address_space:  global
        .offset:         0
        .size:           8
        .value_kind:     global_buffer
      - .address_space:  global
        .offset:         8
        .size:           8
        .value_kind:     global_buffer
      - .address_space:  global
        .offset:         16
        .size:           8
        .value_kind:     global_buffer
      - .address_space:  global
        .offset:         24
        .size:           8
        .value_kind:     global_buffer
      - .address_space:  global
        .offset:         32
        .size:           8
        .value_kind:     global_buffer
    .group_segment_fixed_size: 1048
    .kernarg_segment_align: 8
    .kernarg_segment_size: 40
    .language:       OpenCL C
    .language_version:
      - 2
      - 0
    .max_flat_workgroup_size: 1024
    .name:           _Z13gqsort_kernelIjEvPT_S1_P12block_recordIS0_EP13parent_recordP11work_recordIS0_E
    .private_segment_fixed_size: 0
    .sgpr_count:     32
    .sgpr_spill_count: 0
    .symbol:         _Z13gqsort_kernelIjEvPT_S1_P12block_recordIS0_EP13parent_recordP11work_recordIS0_E.kd
    .uniform_work_group_size: 1
    .uses_dynamic_stack: false
    .vgpr_count:     22
    .vgpr_spill_count: 0
    .wavefront_size: 32
    .workgroup_processor_mode: 1
  - .args:
      - .address_space:  global
        .offset:         0
        .size:           8
        .value_kind:     global_buffer
      - .address_space:  global
        .offset:         8
        .size:           8
        .value_kind:     global_buffer
      - .address_space:  global
        .offset:         16
        .size:           8
        .value_kind:     global_buffer
      - .offset:         24
        .size:           4
        .value_kind:     hidden_block_count_x
      - .offset:         28
        .size:           4
        .value_kind:     hidden_block_count_y
      - .offset:         32
        .size:           4
        .value_kind:     hidden_block_count_z
      - .offset:         36
        .size:           2
        .value_kind:     hidden_group_size_x
      - .offset:         38
        .size:           2
        .value_kind:     hidden_group_size_y
      - .offset:         40
        .size:           2
        .value_kind:     hidden_group_size_z
      - .offset:         42
        .size:           2
        .value_kind:     hidden_remainder_x
      - .offset:         44
        .size:           2
        .value_kind:     hidden_remainder_y
      - .offset:         46
        .size:           2
        .value_kind:     hidden_remainder_z
      - .offset:         64
        .size:           8
        .value_kind:     hidden_global_offset_x
      - .offset:         72
        .size:           8
        .value_kind:     hidden_global_offset_y
      - .offset:         80
        .size:           8
        .value_kind:     hidden_global_offset_z
      - .offset:         88
        .size:           2
        .value_kind:     hidden_grid_dims
    .group_segment_fixed_size: 15984
    .kernarg_segment_align: 8
    .kernarg_segment_size: 280
    .language:       OpenCL C
    .language_version:
      - 2
      - 0
    .max_flat_workgroup_size: 1024
    .name:           _Z13lqsort_kernelIjEvPT_S1_P11work_recordIS0_E
    .private_segment_fixed_size: 0
    .sgpr_count:     35
    .sgpr_spill_count: 0
    .symbol:         _Z13lqsort_kernelIjEvPT_S1_P11work_recordIS0_E.kd
    .uniform_work_group_size: 1
    .uses_dynamic_stack: false
    .vgpr_count:     70
    .vgpr_spill_count: 0
    .wavefront_size: 32
    .workgroup_processor_mode: 1
  - .args:
      - .address_space:  global
        .offset:         0
        .size:           8
        .value_kind:     global_buffer
      - .address_space:  global
        .offset:         8
        .size:           8
        .value_kind:     global_buffer
      - .address_space:  global
        .offset:         16
        .size:           8
        .value_kind:     global_buffer
      - .address_space:  global
        .offset:         24
        .size:           8
        .value_kind:     global_buffer
      - .address_space:  global
        .offset:         32
        .size:           8
        .value_kind:     global_buffer
    .group_segment_fixed_size: 1048
    .kernarg_segment_align: 8
    .kernarg_segment_size: 40
    .language:       OpenCL C
    .language_version:
      - 2
      - 0
    .max_flat_workgroup_size: 1024
    .name:           _Z13gqsort_kernelIfEvPT_S1_P12block_recordIS0_EP13parent_recordP11work_recordIS0_E
    .private_segment_fixed_size: 0
    .sgpr_count:     32
    .sgpr_spill_count: 0
    .symbol:         _Z13gqsort_kernelIfEvPT_S1_P12block_recordIS0_EP13parent_recordP11work_recordIS0_E.kd
    .uniform_work_group_size: 1
    .uses_dynamic_stack: false
    .vgpr_count:     22
    .vgpr_spill_count: 0
    .wavefront_size: 32
    .workgroup_processor_mode: 1
  - .args:
      - .address_space:  global
        .offset:         0
        .size:           8
        .value_kind:     global_buffer
      - .address_space:  global
        .offset:         8
        .size:           8
        .value_kind:     global_buffer
      - .address_space:  global
        .offset:         16
        .size:           8
        .value_kind:     global_buffer
      - .offset:         24
        .size:           4
        .value_kind:     hidden_block_count_x
      - .offset:         28
        .size:           4
        .value_kind:     hidden_block_count_y
      - .offset:         32
        .size:           4
        .value_kind:     hidden_block_count_z
      - .offset:         36
        .size:           2
        .value_kind:     hidden_group_size_x
      - .offset:         38
        .size:           2
        .value_kind:     hidden_group_size_y
      - .offset:         40
        .size:           2
        .value_kind:     hidden_group_size_z
      - .offset:         42
        .size:           2
        .value_kind:     hidden_remainder_x
      - .offset:         44
        .size:           2
        .value_kind:     hidden_remainder_y
      - .offset:         46
        .size:           2
        .value_kind:     hidden_remainder_z
      - .offset:         64
        .size:           8
        .value_kind:     hidden_global_offset_x
      - .offset:         72
        .size:           8
        .value_kind:     hidden_global_offset_y
      - .offset:         80
        .size:           8
        .value_kind:     hidden_global_offset_z
      - .offset:         88
        .size:           2
        .value_kind:     hidden_grid_dims
    .group_segment_fixed_size: 15984
    .kernarg_segment_align: 8
    .kernarg_segment_size: 280
    .language:       OpenCL C
    .language_version:
      - 2
      - 0
    .max_flat_workgroup_size: 1024
    .name:           _Z13lqsort_kernelIfEvPT_S1_P11work_recordIS0_E
    .private_segment_fixed_size: 0
    .sgpr_count:     35
    .sgpr_spill_count: 0
    .symbol:         _Z13lqsort_kernelIfEvPT_S1_P11work_recordIS0_E.kd
    .uniform_work_group_size: 1
    .uses_dynamic_stack: false
    .vgpr_count:     69
    .vgpr_spill_count: 0
    .wavefront_size: 32
    .workgroup_processor_mode: 1
  - .args:
      - .address_space:  global
        .offset:         0
        .size:           8
        .value_kind:     global_buffer
      - .address_space:  global
        .offset:         8
        .size:           8
        .value_kind:     global_buffer
      - .address_space:  global
        .offset:         16
        .size:           8
        .value_kind:     global_buffer
      - .address_space:  global
        .offset:         24
        .size:           8
        .value_kind:     global_buffer
      - .address_space:  global
        .offset:         32
        .size:           8
        .value_kind:     global_buffer
    .group_segment_fixed_size: 1048
    .kernarg_segment_align: 8
    .kernarg_segment_size: 40
    .language:       OpenCL C
    .language_version:
      - 2
      - 0
    .max_flat_workgroup_size: 1024
    .name:           _Z13gqsort_kernelIdEvPT_S1_P12block_recordIS0_EP13parent_recordP11work_recordIS0_E
    .private_segment_fixed_size: 0
    .sgpr_count:     33
    .sgpr_spill_count: 0
    .symbol:         _Z13gqsort_kernelIdEvPT_S1_P12block_recordIS0_EP13parent_recordP11work_recordIS0_E.kd
    .uniform_work_group_size: 1
    .uses_dynamic_stack: false
    .vgpr_count:     22
    .vgpr_spill_count: 0
    .wavefront_size: 32
    .workgroup_processor_mode: 1
  - .args:
      - .address_space:  global
        .offset:         0
        .size:           8
        .value_kind:     global_buffer
      - .address_space:  global
        .offset:         8
        .size:           8
        .value_kind:     global_buffer
      - .address_space:  global
        .offset:         16
        .size:           8
        .value_kind:     global_buffer
      - .offset:         24
        .size:           4
        .value_kind:     hidden_block_count_x
      - .offset:         28
        .size:           4
        .value_kind:     hidden_block_count_y
      - .offset:         32
        .size:           4
        .value_kind:     hidden_block_count_z
      - .offset:         36
        .size:           2
        .value_kind:     hidden_group_size_x
      - .offset:         38
        .size:           2
        .value_kind:     hidden_group_size_y
      - .offset:         40
        .size:           2
        .value_kind:     hidden_group_size_z
      - .offset:         42
        .size:           2
        .value_kind:     hidden_remainder_x
      - .offset:         44
        .size:           2
        .value_kind:     hidden_remainder_y
      - .offset:         46
        .size:           2
        .value_kind:     hidden_remainder_z
      - .offset:         64
        .size:           8
        .value_kind:     hidden_global_offset_x
      - .offset:         72
        .size:           8
        .value_kind:     hidden_global_offset_y
      - .offset:         80
        .size:           8
        .value_kind:     hidden_global_offset_z
      - .offset:         88
        .size:           2
        .value_kind:     hidden_grid_dims
    .group_segment_fixed_size: 30832
    .kernarg_segment_align: 8
    .kernarg_segment_size: 280
    .language:       OpenCL C
    .language_version:
      - 2
      - 0
    .max_flat_workgroup_size: 1024
    .name:           _Z13lqsort_kernelIdEvPT_S1_P11work_recordIS0_E
    .private_segment_fixed_size: 0
    .sgpr_count:     35
    .sgpr_spill_count: 0
    .symbol:         _Z13lqsort_kernelIdEvPT_S1_P11work_recordIS0_E.kd
    .uniform_work_group_size: 1
    .uses_dynamic_stack: false
    .vgpr_count:     72
    .vgpr_spill_count: 0
    .wavefront_size: 32
    .workgroup_processor_mode: 1
amdhsa.target:   amdgcn-amd-amdhsa--gfx1201
amdhsa.version:
  - 1
  - 2
...

	.end_amdgpu_metadata
